;; amdgpu-corpus repo=ROCm/aiter kind=harvested arch=n/a opt=n/a

/root/src/amdgpu-assembly/repos/ROCm__aiter/hsa/gfx950/fmoe_2stages/fmoe_stage1_bf16_pertokenFp8_g1u1_32x128_3tg_pf2.co:	file format elf64-amdgpu

Disassembly of section .text:

0000000000002a00 <_ZN5aiter48fmoe_stage1_bf16_pertokenFp8_g1u1_32x128_3tg_pf2E>:
	s_and_b32 s1, s1, 0xffff                                   // 000000002A00: 8601FF01 0000FFFF
	s_load_dwordx2 s[8:9], s[0:1], 0x0                         // 000000002A08: C0060200 00000000
	s_load_dwordx2 s[20:21], s[0:1], 0x10                      // 000000002A10: C0060500 00000010
	s_load_dwordx2 s[24:25], s[0:1], 0x20                      // 000000002A18: C0060600 00000020
	s_load_dwordx2 s[48:49], s[0:1], 0x30                      // 000000002A20: C0060C00 00000030
	s_load_dwordx2 s[28:29], s[0:1], 0x40                      // 000000002A28: C0060700 00000040
	s_load_dwordx2 s[32:33], s[0:1], 0x50                      // 000000002A30: C0060800 00000050
	s_load_dwordx2 s[36:37], s[0:1], 0x60                      // 000000002A38: C0060900 00000060
	s_load_dwordx2 s[12:13], s[0:1], 0x70                      // 000000002A40: C0060300 00000070
	s_load_dwordx2 s[44:45], s[0:1], 0x80                      // 000000002A48: C0060B00 00000080
	s_mov_b32 s89, 0                                           // 000000002A50: BED90080
	s_load_dword s64, s[0:1], 0x90                             // 000000002A54: C0021000 00000090
	s_load_dword s65, s[0:1], 0xa0                             // 000000002A5C: C0021040 000000A0
	s_load_dword s66, s[0:1], 0xb0                             // 000000002A64: C0021080 000000B0
	s_load_dword s67, s[0:1], 0xc0                             // 000000002A6C: C00210C0 000000C0
	s_load_dword s68, s[0:1], 0xd0                             // 000000002A74: C0021100 000000D0
	s_load_dword s69, s[0:1], 0xe0                             // 000000002A7C: C0021140 000000E0
	s_load_dword s71, s[0:1], 0xf0                             // 000000002A84: C00211C0 000000F0
	s_load_dword s72, s[0:1], 0x100                            // 000000002A8C: C0021200 00000100
	s_load_dword s74, s[0:1], 0x110                            // 000000002A94: C0021280 00000110
	s_load_dword s76, s[0:1], 0x120                            // 000000002A9C: C0021300 00000120
	s_load_dword s56, s[0:1], 0x130                            // 000000002AA4: C0020E00 00000130
	s_load_dword s88, s[0:1], 0x140                            // 000000002AAC: C0021600 00000140
	s_load_dword s89, s[0:1], 0x150                            // 000000002AB4: C0021640 00000150
	v_lshrrev_b32_e32 v1, 10, v0                               // 000000002ABC: 2002008A
	v_lshrrev_b32_e32 v2, 10, v1                               // 000000002AC0: 2004028A
	v_and_b32_e32 v2, 0x3ff, v2                                // 000000002AC4: 260404FF 000003FF
	v_and_b32_e32 v1, 0x3ff, v1                                // 000000002ACC: 260202FF 000003FF
	v_and_b32_e32 v0, 0x3ff, v0                                // 000000002AD4: 260000FF 000003FF
	v_lshrrev_b32_e32 v3, 6, v0                                // 000000002ADC: 20060086
	v_and_b32_e32 v0, 63, v0                                   // 000000002AE0: 260000BF
	s_mov_b32 s2, s2                                           // 000000002AE4: BE820002
	s_mov_b32 s3, s3                                           // 000000002AE8: BE830003
	s_mov_b32 s4, s4                                           // 000000002AEC: BE840004
	v_readfirstlane_b32 s7, v3                                 // 000000002AF0: 7E0E0503
	s_waitcnt lgkmcnt(0)                                       // 000000002AF4: BF8CC07F
	s_and_b32 s49, s49, 0xffff                                 // 000000002AF8: 8631FF31 0000FFFF
	s_load_dword s48, s[48:49], 0x0                            // 000000002B00: C0020C18 00000000
	s_and_b32 s45, s45, 0xffff                                 // 000000002B08: 862DFF2D 0000FFFF
	s_and_b32 s9, s9, 0xffff                                   // 000000002B10: 8609FF09 0000FFFF
	s_mul_i32 s60, s66, s68                                    // 000000002B18: 923C4442
	s_mul_i32 s61, s66, 4                                      // 000000002B1C: 923D8442
	s_mov_b32 s22, s60                                         // 000000002B20: BE96003C
	s_mov_b32 s26, -16                                         // 000000002B24: BE9A00D0
	s_mov_b32 s30, s61                                         // 000000002B28: BE9E003D
	s_mov_b32 s14, 0x80                                        // 000000002B2C: BE8E00FF 00000080
	s_mov_b32 s38, -16                                         // 000000002B34: BEA600D0
	s_mov_b32 s10, -16                                         // 000000002B38: BE8A00D0
	s_mov_b32 s34, 0x200                                       // 000000002B3C: BEA200FF 00000200
	s_mov_b32 s23, 0x20000                                     // 000000002B44: BE9700FF 00020000
	s_mov_b32 s27, 0x20000                                     // 000000002B4C: BE9B00FF 00020000
	s_mov_b32 s31, 0x20000                                     // 000000002B54: BE9F00FF 00020000
	s_mov_b32 s35, 0x20000                                     // 000000002B5C: BEA300FF 00020000
	s_mov_b32 s15, 0x20000                                     // 000000002B64: BE8F00FF 00020000
	s_mov_b32 s39, 0x20000                                     // 000000002B6C: BEA700FF 00020000
	s_mov_b32 s11, 0x20000                                     // 000000002B74: BE8B00FF 00020000
	s_and_b32 s21, s21, 0xffff                                 // 000000002B7C: 8615FF15 0000FFFF
	s_and_b32 s25, s25, 0xffff                                 // 000000002B84: 8619FF19 0000FFFF
	s_and_b32 s29, s29, 0xffff                                 // 000000002B8C: 861DFF1D 0000FFFF
	s_and_b32 s33, s33, 0xffff                                 // 000000002B94: 8621FF21 0000FFFF
	s_and_b32 s13, s13, 0xffff                                 // 000000002B9C: 860DFF0D 0000FFFF
	s_and_b32 s37, s37, 0xffff                                 // 000000002BA4: 8625FF25 0000FFFF
	s_or_b32 s21, s21, 0x40000                                 // 000000002BAC: 8715FF15 00040000
	s_or_b32 s25, s25, 0x40000                                 // 000000002BB4: 8719FF19 00040000
	s_or_b32 s29, s29, 0x40000                                 // 000000002BBC: 871DFF1D 00040000
	s_or_b32 s33, s33, 0x40000                                 // 000000002BC4: 8721FF21 00040000
	s_or_b32 s13, s13, 0x40000                                 // 000000002BCC: 870DFF0D 00040000
	s_or_b32 s37, s37, 0x40000                                 // 000000002BD4: 8725FF25 00040000
	v_accvgpr_write_b32 a63, 0                                 // 000000002BDC: D3D9403F 18000080
	v_mov_b32_e32 v75, 0                                       // 000000002BE4: 7E960280
	s_waitcnt lgkmcnt(0)                                       // 000000002BE8: BF8CC07F
	s_mul_i32 s60, s3, 32                                      // 000000002BEC: 923CA003
	s_cmp_lt_i32 s60, s48                                      // 000000002BF0: BF04303C
	s_cbranch_scc0 label_0DBC                                  // 000000002BF4: BF840D3B
	s_mov_b32 s80, 0                                           // 000000002BF8: BED00080
	s_lshr_b32 s81, s64, s88                                   // 000000002BFC: 8F515840
	s_mul_i32 s60, s3, 4                                       // 000000002C00: 923C8403
	s_add_u32 s44, s60, s44                                    // 000000002C04: 802C2C3C
	s_addc_u32 s45, 0, s45                                     // 000000002C08: 822D2D80
	s_load_dword s5, s[44:45], 0x0                             // 000000002C0C: C0020156 00000000
	s_mul_i32 s60, s3, 32                                      // 000000002C14: 923CA003
	s_mul_i32 s60, 4, s60                                      // 000000002C18: 923C3C84
	s_add_u32 s12, s60, s12                                    // 000000002C1C: 800C0C3C
	s_addc_u32 s13, 0, s13                                     // 000000002C20: 820D0D80
	v_and_b32_e32 v4, 15, v0                                   // 000000002C24: 2608008F
	v_lshlrev_b32_e32 v4, 2, v4                                // 000000002C28: 24080882
	buffer_load_dword v28, v4, s[12:15], 0 offen               // 000000002C2C: E0501000 80031C04
	v_add_u32_e32 v4, 64, v4                                   // 000000002C34: 680808C0
	buffer_load_dword v29, v4, s[12:15], 0 offen               // 000000002C38: E0501000 80031D04
	v_add_u32_e32 v4, 64, v4                                   // 000000002C40: 680808C0
	s_mul_i32 s60, 4, s7                                       // 000000002C44: 923C0784
	v_lshlrev_b32_e32 v4, 4, v0                                // 000000002C48: 24080084
	v_add_u32_e32 v4, s60, v4                                  // 000000002C4C: 6808083C
	buffer_load_dword v3, v4, s[12:15], 0 offen                // 000000002C50: E0501000 80030304
	v_mov_b32_e32 v44, 0                                       // 000000002C58: 7E580280
	v_mov_b32_e32 v60, 0                                       // 000000002C5C: 7E780280
	v_mov_b32_e32 v45, 0                                       // 000000002C60: 7E5A0280
	v_mov_b32_e32 v61, 0                                       // 000000002C64: 7E7A0280
	v_mov_b32_e32 v46, 0                                       // 000000002C68: 7E5C0280
	v_mov_b32_e32 v62, 0                                       // 000000002C6C: 7E7C0280
	v_mov_b32_e32 v47, 0                                       // 000000002C70: 7E5E0280
	v_mov_b32_e32 v63, 0                                       // 000000002C74: 7E7E0280
	v_mov_b32_e32 v48, 0                                       // 000000002C78: 7E600280
	v_mov_b32_e32 v64, 0                                       // 000000002C7C: 7E800280
	v_mov_b32_e32 v49, 0                                       // 000000002C80: 7E620280
	v_mov_b32_e32 v65, 0                                       // 000000002C84: 7E820280
	v_mov_b32_e32 v50, 0                                       // 000000002C88: 7E640280
	v_mov_b32_e32 v66, 0                                       // 000000002C8C: 7E840280
	v_mov_b32_e32 v51, 0                                       // 000000002C90: 7E660280
	v_mov_b32_e32 v67, 0                                       // 000000002C94: 7E860280
	v_mov_b32_e32 v52, 0                                       // 000000002C98: 7E680280
	v_mov_b32_e32 v68, 0                                       // 000000002C9C: 7E880280
	v_mov_b32_e32 v53, 0                                       // 000000002CA0: 7E6A0280
	v_mov_b32_e32 v69, 0                                       // 000000002CA4: 7E8A0280
	v_mov_b32_e32 v54, 0                                       // 000000002CA8: 7E6C0280
	v_mov_b32_e32 v70, 0                                       // 000000002CAC: 7E8C0280
	v_mov_b32_e32 v55, 0                                       // 000000002CB0: 7E6E0280
	v_mov_b32_e32 v71, 0                                       // 000000002CB4: 7E8E0280
	v_mov_b32_e32 v56, 0                                       // 000000002CB8: 7E700280
	v_mov_b32_e32 v72, 0                                       // 000000002CBC: 7E900280
	v_mov_b32_e32 v57, 0                                       // 000000002CC0: 7E720280
	v_mov_b32_e32 v73, 0                                       // 000000002CC4: 7E920280
	v_mov_b32_e32 v58, 0                                       // 000000002CC8: 7E740280
	v_mov_b32_e32 v74, 0                                       // 000000002CCC: 7E940280
	v_mov_b32_e32 v59, 0                                       // 000000002CD0: 7E760280
	v_mov_b32_e32 v75, 0                                       // 000000002CD4: 7E960280
	s_mul_i32 s60, s2, 0x100                                   // 000000002CD8: 923CFF02 00000100
	s_cmp_eq_u32 s88, 0                                        // 000000002CE0: BF068058
	s_cselect_b32 s61, 1, 2                                    // 000000002CE4: 853D8281
	s_mul_i32 s60, s60, s61                                    // 000000002CE8: 923C3D3C
	s_mov_b32 s90, s8                                          // 000000002CEC: BEDA0008
	s_mov_b32 s91, s9                                          // 000000002CF0: BEDB0009
	s_add_u32 s8, s60, s8                                      // 000000002CF4: 8008083C
	s_addc_u32 s9, 0, s9                                       // 000000002CF8: 82090980
	v_lshrrev_b32_e32 v4, 4, v0                                // 000000002CFC: 20080084
	v_mul_lo_u32 v20, 34, v4                                   // 000000002D00: D2850014 000208A2
	v_and_b32_e32 v4, 15, v0                                   // 000000002D08: 2608008F
	v_mul_lo_u32 v5, 2, v4                                     // 000000002D0C: D2850005 00020882
	v_add_u32_e32 v20, v5, v20                                 // 000000002D14: 68282905
	s_mul_i32 s60, s7, 0x88                                    // 000000002D18: 923CFF07 00000088
	v_add_u32_e32 v20, s60, v20                                // 000000002D20: 6828283C
	v_lshlrev_b32_e32 v20, 2, v20                              // 000000002D24: 24282882
	v_and_b32_e32 v4, 31, v0                                   // 000000002D28: 2608009F
	v_lshrrev_b32_e32 v4, 1, v4                                // 000000002D2C: 20080881
	v_mul_lo_u32 v21, 34, v4                                   // 000000002D30: D2850015 000208A2
	v_lshrrev_b32_e32 v4, 5, v0                                // 000000002D38: 20080085
	v_mul_lo_u32 v4, 8, v4                                     // 000000002D3C: D2850004 00020888
	v_add_u32_e32 v21, v21, v4                                 // 000000002D44: 682A0915
	v_and_b32_e32 v5, 1, v0                                    // 000000002D48: 260A0081
	v_add_u32_e32 v21, v5, v21                                 // 000000002D4C: 682A2B05
	s_mul_i32 s60, s7, 2                                       // 000000002D50: 923C8207
	v_add_u32_e32 v21, s60, v21                                // 000000002D54: 682A2A3C
	v_lshlrev_b32_e32 v21, 2, v21                              // 000000002D58: 242A2A82
	s_mul_i32 s60, s7, 0x420                                   // 000000002D5C: 923CFF07 00000420
	s_add_u32 s48, 0, s60                                      // 000000002D64: 80303C80
	s_add_u32 s49, 0x1080, s48                                 // 000000002D68: 803130FF 00001080
	v_lshrrev_b32_e32 v4, 4, v0                                // 000000002D70: 20080084
	v_lshlrev_b32_e32 v5, 2, v4                                // 000000002D74: 240A0882
	v_and_b32_e32 v4, 15, v0                                   // 000000002D78: 2608008F
	v_lshrrev_b32_e32 v6, 2, v4                                // 000000002D7C: 200C0882
	v_lshlrev_b32_e32 v6, 5, v6                                // 000000002D80: 240C0C85
	v_add_u32_e32 v5, v6, v5                                   // 000000002D84: 680A0B06
	v_and_b32_e32 v4, 3, v0                                    // 000000002D88: 26080083
	v_mul_u32_u24_e32 v6, 0x108, v4                            // 000000002D8C: 100C08FF 00000108
	v_add_u32_e32 v5, v6, v5                                   // 000000002D94: 680A0B06
	v_lshlrev_b32_e32 v2, 2, v5                                // 000000002D98: 24040A82
	s_waitcnt lgkmcnt(0)                                       // 000000002D9C: BF8CC07F
	s_mul_i32 s60, s2, 0x80                                    // 000000002DA0: 923CFF02 00000080
	s_mul_i32 s60, s60, s69                                    // 000000002DA8: 923C453C
	s_mul_i32 s61, s5, s72                                     // 000000002DAC: 923D4805
	s_add_u32 s60, s61, s60                                    // 000000002DB0: 803C3C3D
	s_add_u32 s24, s60, s24                                    // 000000002DB4: 8018183C
	s_addc_u32 s25, 0, s25                                     // 000000002DB8: 82191980
	s_lshr_b32 s60, s64, s88                                   // 000000002DBC: 8F3C5840
	s_mul_i32 s60, s4, s60                                     // 000000002DC0: 923C3C04
	s_lshr_b32 s60, s60, 7                                     // 000000002DC4: 8F3C873C
	s_mul_i32 s60, s60, 0x800                                  // 000000002DC8: 923CFF3C 00000800
	s_add_u32 s24, s60, s24                                    // 000000002DD0: 8018183C
	s_addc_u32 s25, 0, s25                                     // 000000002DD4: 82191980
	s_lshr_b32 s60, s69, s88                                   // 000000002DD8: 8F3C5845
	s_mul_i32 s60, s4, s60                                     // 000000002DDC: 923C3C04
	s_add_u32 s20, s60, s20                                    // 000000002DE0: 8014143C
	s_addc_u32 s21, 0, s21                                     // 000000002DE4: 82151580
	s_mul_i32 s60, s7, 16                                      // 000000002DE8: 923C9007
	s_mul_i32 s60, s60, s69                                    // 000000002DEC: 923C453C
	v_lshlrev_b32_e32 v40, 4, v0                               // 000000002DF0: 24500084
	v_add_u32_e32 v40, s60, v40                                // 000000002DF4: 6850503C
	s_mul_i32 s60, 64, s69                                     // 000000002DF8: 923C45C0
	v_add_u32_e32 v41, s60, v40                                // 000000002DFC: 6852503C
	s_mov_b32 s84, s24                                         // 000000002E00: BED40018
	s_mov_b32 s85, s25                                         // 000000002E04: BED50019
	s_mov_b32 s86, s26                                         // 000000002E08: BED6001A
	s_mov_b32 s87, s27                                         // 000000002E0C: BED7001B
	s_mul_i32 s60, s69, s65                                    // 000000002E10: 923C4145
	s_add_u32 s84, s60, s84                                    // 000000002E14: 8054543C
	s_addc_u32 s85, 0, s85                                     // 000000002E18: 82555580
	v_lshrrev_b32_e32 v4, 4, v0                                // 000000002E1C: 20080084
	v_lshlrev_b32_e32 v5, 2, v4                                // 000000002E20: 240A0882
	v_and_b32_e32 v4, 15, v0                                   // 000000002E24: 2608008F
	v_lshrrev_b32_e32 v6, 2, v4                                // 000000002E28: 200C0882
	v_lshlrev_b32_e32 v6, 6, v6                                // 000000002E2C: 240C0C86
	v_add_u32_e32 v5, v6, v5                                   // 000000002E30: 680A0B06
	v_and_b32_e32 v4, 3, v0                                    // 000000002E34: 26080083
	v_add_u32_e32 v5, v4, v5                                   // 000000002E38: 680A0B04
	v_lshlrev_b32_e32 v22, 2, v5                               // 000000002E3C: 242C0A82
	s_mul_i32 s60, s7, 16                                      // 000000002E40: 923C9007
	s_mul_i32 s60, s60, 4                                      // 000000002E44: 923C843C
	v_add_u32_e32 v22, s60, v22                                // 000000002E48: 682C2C3C
	s_mul_i32 s60, s2, 0x80                                    // 000000002E4C: 923CFF02 00000080
	s_mul_i32 s60, s60, 4                                      // 000000002E54: 923C843C
	s_mul_i32 s61, s5, s74                                     // 000000002E58: 923D4A05
	s_add_u32 s61, s61, s60                                    // 000000002E5C: 803D3C3D
	s_add_u32 s32, s61, s32                                    // 000000002E60: 8020203D
	s_addc_u32 s33, 0, s33                                     // 000000002E64: 82212180
	s_mov_b32 s57, 0x80                                        // 000000002E68: BEB900FF 00000080
	s_mov_b32 s58, 0x800                                       // 000000002E70: BEBA00FF 00000800
	s_mov_b32 s83, s58                                         // 000000002E78: BED3003A
	s_mov_b32 s52, 0x7060302                                   // 000000002E7C: BEB400FF 07060302
	s_mov_b32 s53, 0x400                                       // 000000002E84: BEB500FF 00000400
	s_mov_b32 s54, 0x40100                                     // 000000002E8C: BEB600FF 00040100
	s_mov_b32 s55, 0x4020100                                   // 000000002E94: BEB700FF 04020100
	s_mov_b32 s6, 0x3fb8aa3b                                   // 000000002E9C: BE8600FF 3FB8AA3B
	s_mov_b32 s78, 0xbd92220c                                  // 000000002EA4: BECE00FF BD92220C
	s_mov_b32 s79, 0xbd92220c                                  // 000000002EAC: BECF00FF BD92220C
	s_mov_b32 m0, s48                                          // 000000002EB4: BEFC0030
	v_mov_b32_e32 v1, 0xbfcc4231                               // 000000002EB8: 7E0202FF BFCC4231
	v_mov_b32_e32 v17, 0xffff0000                              // 000000002EC0: 7E2202FF FFFF0000
	v_mov_b32_e32 v18, 0x7fff0000                              // 000000002EC8: 7E2402FF 7FFF0000
	v_mov_b32_e32 v19, 0x7fff                                  // 000000002ED0: 7E2602FF 00007FFF
	s_waitcnt vmcnt(0) expcnt(0) lgkmcnt(0)                    // 000000002ED8: BF8C0000
	v_lshrrev_b32_e32 v4, 5, v0                                // 000000002EDC: 20080085
	v_xor_b32_e32 v5, 1, v4                                    // 000000002EE0: 2A0A0881
	v_readlane_b32 s82, v3, 0                                  // 000000002EE4: D2890052 00010103
	s_and_b32 s82, s82, 0xffffff                               // 000000002EEC: 8652FF52 00FFFFFF
	v_mul_lo_u32 v6, v5, s82                                   // 000000002EF4: D2850006 0000A505
	v_readlane_b32 s82, v3, 1                                  // 000000002EFC: D2890052 00010303
	s_and_b32 s82, s82, 0xffffff                               // 000000002F04: 8652FF52 00FFFFFF
	v_mul_lo_u32 v7, v4, s82                                   // 000000002F0C: D2850007 0000A504
	v_add_u32_e32 v36, v6, v7                                  // 000000002F14: 68480F06
	v_mul_lo_u32 v36, v36, s68                                 // 000000002F18: D2850024 00008924
	v_readlane_b32 s82, v3, 2                                  // 000000002F20: D2890052 00010503
	s_and_b32 s82, s82, 0xffffff                               // 000000002F28: 8652FF52 00FFFFFF
	v_mul_lo_u32 v6, v5, s82                                   // 000000002F30: D2850006 0000A505
	v_readlane_b32 s82, v3, 3                                  // 000000002F38: D2890052 00010703
	s_and_b32 s82, s82, 0xffffff                               // 000000002F40: 8652FF52 00FFFFFF
	v_mul_lo_u32 v7, v4, s82                                   // 000000002F48: D2850007 0000A504
	v_add_u32_e32 v37, v6, v7                                  // 000000002F50: 684A0F06
	v_mul_lo_u32 v37, v37, s68                                 // 000000002F54: D2850025 00008925
	v_readlane_b32 s82, v3, 4                                  // 000000002F5C: D2890052 00010903
	s_and_b32 s82, s82, 0xffffff                               // 000000002F64: 8652FF52 00FFFFFF
	v_mul_lo_u32 v6, v5, s82                                   // 000000002F6C: D2850006 0000A505
	v_readlane_b32 s82, v3, 5                                  // 000000002F74: D2890052 00010B03
	s_and_b32 s82, s82, 0xffffff                               // 000000002F7C: 8652FF52 00FFFFFF
	v_mul_lo_u32 v7, v4, s82                                   // 000000002F84: D2850007 0000A504
	v_add_u32_e32 v38, v6, v7                                  // 000000002F8C: 684C0F06
	v_mul_lo_u32 v38, v38, s68                                 // 000000002F90: D2850026 00008926
	v_readlane_b32 s82, v3, 6                                  // 000000002F98: D2890052 00010D03
	s_and_b32 s82, s82, 0xffffff                               // 000000002FA0: 8652FF52 00FFFFFF
	v_mul_lo_u32 v6, v5, s82                                   // 000000002FA8: D2850006 0000A505
	v_readlane_b32 s82, v3, 7                                  // 000000002FB0: D2890052 00010F03
	s_and_b32 s82, s82, 0xffffff                               // 000000002FB8: 8652FF52 00FFFFFF
	v_mul_lo_u32 v7, v4, s82                                   // 000000002FC0: D2850007 0000A504
	v_add_u32_e32 v39, v6, v7                                  // 000000002FC8: 684E0F06
	v_mul_lo_u32 v39, v39, s68                                 // 000000002FCC: D2850027 00008927
	v_and_b32_e32 v4, 31, v0                                   // 000000002FD4: 2608009F
	v_lshlrev_b32_e32 v4, 2, v4                                // 000000002FD8: 24080882
	v_add_u32_e32 v36, v36, v4                                 // 000000002FDC: 68480924
	v_add_u32_e32 v37, v37, v4                                 // 000000002FE0: 684A0925
	v_add_u32_e32 v38, v38, v4                                 // 000000002FE4: 684C0926
	v_add_u32_e32 v39, v39, v4                                 // 000000002FE8: 684E0927
	v_and_b32_e32 v28, 0xffffff, v28                           // 000000002FEC: 263838FF 00FFFFFF
	v_lshlrev_b32_e32 v28, 2, v28                              // 000000002FF4: 24383882
	v_and_b32_e32 v29, 0xffffff, v29                           // 000000002FF8: 263A3AFF 00FFFFFF
	v_lshlrev_b32_e32 v29, 2, v29                              // 000000003000: 243A3A82
	s_lshl_b32 s3, s66, 2                                      // 000000003004: 8E038242
	buffer_load_dword v30, v28, s[28:31], 0 offen              // 000000003008: E0501000 80071E1C
	buffer_load_dword v31, v29, s[28:31], 0 offen              // 000000003010: E0501000 80071F1D
	buffer_load_dword v24, v22, s[32:35], 0 offen              // 000000003018: E0501000 80081816
	s_mul_i32 s60, 4, s65                                      // 000000003020: 923C4184
	s_add_u32 s32, s60, s32                                    // 000000003024: 8020203C
	s_addc_u32 s33, 0, s33                                     // 000000003028: 82212180
	buffer_load_dword v26, v22, s[32:35], 0 offen              // 00000000302C: E0501000 80081A16
	buffer_load_dword v36, s[20:23], 0 offen lds               // 000000003034: E0511000 80050024
	s_add_u32 m0, 0x100, s48                                   // 00000000303C: 807C30FF 00000100
	buffer_load_dword v37, s[20:23], 0 offen lds               // 000000003044: E0511000 80050025
	s_add_u32 m0, 0x200, s48                                   // 00000000304C: 807C30FF 00000200
	buffer_load_dword v38, s[20:23], 0 offen lds               // 000000003054: E0511000 80050026
	s_add_u32 m0, 0x300, s48                                   // 00000000305C: 807C30FF 00000300
	buffer_load_dword v39, s[20:23], 0 offen lds               // 000000003064: E0511000 80050027
	s_add_u32 m0, 0, s49                                       // 00000000306C: 807C3180
	s_add_u32 s20, s57, s20                                    // 000000003070: 80141439
	s_addc_u32 s21, 0, s21                                     // 000000003074: 82151580
	buffer_load_dword v36, s[20:23], 0 offen lds               // 000000003078: E0511000 80050024
	s_add_u32 m0, 0x100, s49                                   // 000000003080: 807C31FF 00000100
	buffer_load_dword v37, s[20:23], 0 offen lds               // 000000003088: E0511000 80050025
	s_add_u32 m0, 0x200, s49                                   // 000000003090: 807C31FF 00000200
	buffer_load_dword v38, s[20:23], 0 offen lds               // 000000003098: E0511000 80050026
	s_add_u32 m0, 0x300, s49                                   // 0000000030A0: 807C31FF 00000300
	buffer_load_dword v39, s[20:23], 0 offen lds               // 0000000030A8: E0511000 80050027
	s_add_u32 m0, 0, s48                                       // 0000000030B0: 807C3080
	s_add_u32 s20, s57, s20                                    // 0000000030B4: 80141439
	s_addc_u32 s21, 0, s21                                     // 0000000030B8: 82151580
	buffer_load_dwordx4 a[32:35], v40, s[24:27], 0 offen       // 0000000030BC: E05C1000 80862028
	buffer_load_dwordx4 a[36:39], v40, s[24:27], 0 offen offset:1024// 0000000030C4: E05C1400 80862428
	buffer_load_dwordx4 a[40:43], v41, s[24:27], 0 offen       // 0000000030CC: E05C1000 80862829
	buffer_load_dwordx4 a[44:47], v41, s[24:27], 0 offen offset:1024// 0000000030D4: E05C1400 80862C29
	s_add_u32 s24, s58, s24                                    // 0000000030DC: 8018183A
	s_addc_u32 s25, 0, s25                                     // 0000000030E0: 82191980
	s_waitcnt vmcnt(8)                                         // 0000000030E4: BF8C0F78
	s_barrier                                                  // 0000000030E8: BF8A0000
	ds_read_b128 a[0:3], v2                                    // 0000000030EC: DBFE0000 00000002
	ds_read_b128 a[4:7], v2 offset:64                          // 0000000030F4: DBFE0040 04000002
	ds_read_b128 a[8:11], v2 offset:512                        // 0000000030FC: DBFE0200 08000002
	ds_read_b128 a[12:15], v2 offset:576                       // 000000003104: DBFE0240 0C000002
	s_cmp_lt_i32 s7, 2                                         // 00000000310C: BF048207
	s_cbranch_scc0 label_07C2                                  // 000000003110: BF8405FA

0000000000003114 <label_01C5>:
	s_waitcnt vmcnt(2) lgkmcnt(0)                              // 000000003114: BF8C0072
	s_barrier                                                  // 000000003118: BF8A0000
	v_mfma_f32_16x16x32_fp8_fp8 v[44:47], a[32:33], a[0:1], v[44:47]// 00000000311C: D3F3002C 1CB20120
	v_mfma_f32_16x16x32_fp8_fp8 v[44:47], a[34:35], a[2:3], v[44:47]// 000000003124: D3F3002C 1CB20522
	buffer_load_dwordx4 a[48:51], v40, s[84:87], 0 offen       // 00000000312C: E05C1000 80953028
	v_mfma_f32_16x16x32_fp8_fp8 v[44:47], a[36:37], a[4:5], v[44:47]// 000000003134: D3F3002C 1CB20924
	v_mfma_f32_16x16x32_fp8_fp8 v[44:47], a[38:39], a[6:7], v[44:47]// 00000000313C: D3F3002C 1CB20D26
	v_mfma_f32_16x16x32_fp8_fp8 v[48:51], a[32:33], a[8:9], v[48:51]// 000000003144: D3F30030 1CC21120
	v_mfma_f32_16x16x32_fp8_fp8 v[48:51], a[34:35], a[10:11], v[48:51]// 00000000314C: D3F30030 1CC21522
	buffer_load_dwordx4 a[52:55], v40, s[84:87], 0 offen offset:1024// 000000003154: E05C1400 80953428
	v_mfma_f32_16x16x32_fp8_fp8 v[48:51], a[36:37], a[12:13], v[48:51]// 00000000315C: D3F30030 1CC21924
	v_mfma_f32_16x16x32_fp8_fp8 v[48:51], a[38:39], a[14:15], v[48:51]// 000000003164: D3F30030 1CC21D26
	s_waitcnt vmcnt(2)                                         // 00000000316C: BF8C0F72
	v_mfma_f32_16x16x32_fp8_fp8 v[52:55], a[40:41], a[0:1], v[52:55]// 000000003170: D3F30034 1CD20128
	v_mfma_f32_16x16x32_fp8_fp8 v[52:55], a[42:43], a[2:3], v[52:55]// 000000003178: D3F30034 1CD2052A
	buffer_load_dwordx4 a[56:59], v41, s[84:87], 0 offen       // 000000003180: E05C1000 80953829
	v_mfma_f32_16x16x32_fp8_fp8 v[52:55], a[44:45], a[4:5], v[52:55]// 000000003188: D3F30034 1CD2092C
	v_mfma_f32_16x16x32_fp8_fp8 v[52:55], a[46:47], a[6:7], v[52:55]// 000000003190: D3F30034 1CD20D2E
	v_mfma_f32_16x16x32_fp8_fp8 v[56:59], a[40:41], a[8:9], v[56:59]// 000000003198: D3F30038 1CE21128
	v_mfma_f32_16x16x32_fp8_fp8 v[56:59], a[42:43], a[10:11], v[56:59]// 0000000031A0: D3F30038 1CE2152A
	buffer_load_dwordx4 a[60:63], v41, s[84:87], 0 offen offset:1024// 0000000031A8: E05C1400 80953C29
	buffer_load_dword v36, s[20:23], 0 offen lds               // 0000000031B0: E0511000 80050024
	s_add_u32 m0, 0x100, s48                                   // 0000000031B8: 807C30FF 00000100
	s_add_u32 s60, 0x80, s80                                   // 0000000031C0: 803C50FF 00000080
	s_cmp_lt_u32 s60, s81                                      // 0000000031C8: BF0A513C
	s_cselect_b32 s83, s83, 0                                  // 0000000031CC: 85538053
	v_mfma_f32_16x16x32_fp8_fp8 v[56:59], a[44:45], a[12:13], v[56:59]// 0000000031D0: D3F30038 1CE2192C
	v_mfma_f32_16x16x32_fp8_fp8 v[56:59], a[46:47], a[14:15], v[56:59]// 0000000031D8: D3F30038 1CE21D2E
	buffer_load_dword v37, s[20:23], 0 offen lds               // 0000000031E0: E0511000 80050025
	s_add_u32 m0, 0x200, s48                                   // 0000000031E8: 807C30FF 00000200
	buffer_load_dword v38, s[20:23], 0 offen lds               // 0000000031F0: E0511000 80050026
	s_add_u32 m0, 0x300, s48                                   // 0000000031F8: 807C30FF 00000300
	buffer_load_dword v39, s[20:23], 0 offen lds               // 000000003200: E0511000 80050027
	s_add_u32 m0, 0, s49                                       // 000000003208: 807C3180
	s_waitcnt vmcnt(4)                                         // 00000000320C: BF8C0F74
	v_mfma_f32_16x16x32_fp8_fp8 v[60:63], a[48:49], a[0:1], v[60:63]// 000000003210: D3F3003C 1CF20130
	v_mfma_f32_16x16x32_fp8_fp8 v[60:63], a[50:51], a[2:3], v[60:63]// 000000003218: D3F3003C 1CF20532
	buffer_load_dwordx4 a[32:35], v40, s[24:27], 0 offen       // 000000003220: E05C1000 80862028
	v_mfma_f32_16x16x32_fp8_fp8 v[60:63], a[52:53], a[4:5], v[60:63]// 000000003228: D3F3003C 1CF20934
	v_mfma_f32_16x16x32_fp8_fp8 v[60:63], a[54:55], a[6:7], v[60:63]// 000000003230: D3F3003C 1CF20D36
	ds_read_b128 a[16:19], v2 offset:4224                      // 000000003238: DBFE1080 10000002
	ds_read_b128 a[20:23], v2 offset:4288                      // 000000003240: DBFE10C0 14000002
	v_mfma_f32_16x16x32_fp8_fp8 v[68:71], a[56:57], a[0:1], v[68:71]// 000000003248: D3F30044 1D120138
	v_mfma_f32_16x16x32_fp8_fp8 v[68:71], a[58:59], a[2:3], v[68:71]// 000000003250: D3F30044 1D12053A
	buffer_load_dwordx4 a[36:39], v40, s[24:27], 0 offen offset:1024// 000000003258: E05C1400 80862428
	v_mfma_f32_16x16x32_fp8_fp8 v[68:71], a[60:61], a[4:5], v[68:71]// 000000003260: D3F30044 1D12093C
	v_mfma_f32_16x16x32_fp8_fp8 v[68:71], a[62:63], a[6:7], v[68:71]// 000000003268: D3F30044 1D120D3E
	ds_read_b128 a[24:27], v2 offset:4736                      // 000000003270: DBFE1280 18000002
	ds_read_b128 a[28:31], v2 offset:4800                      // 000000003278: DBFE12C0 1C000002
	v_mfma_f32_16x16x32_fp8_fp8 v[64:67], a[48:49], a[8:9], v[64:67]// 000000003280: D3F30040 1D021130
	v_mfma_f32_16x16x32_fp8_fp8 v[64:67], a[50:51], a[10:11], v[64:67]// 000000003288: D3F30040 1D021532
	buffer_load_dwordx4 a[40:43], v41, s[24:27], 0 offen       // 000000003290: E05C1000 80862829
	v_mfma_f32_16x16x32_fp8_fp8 v[64:67], a[52:53], a[12:13], v[64:67]// 000000003298: D3F30040 1D021934
	s_add_u32 s60, 0x180, s80                                  // 0000000032A0: 803C50FF 00000180
	s_cmp_lt_u32 s60, s81                                      // 0000000032A8: BF0A513C
	s_cselect_b32 s57, s57, 0                                  // 0000000032AC: 85398039
	v_mfma_f32_16x16x32_fp8_fp8 v[64:67], a[54:55], a[14:15], v[64:67]// 0000000032B0: D3F30040 1D021D36
	s_add_u32 s60, 0x100, s80                                  // 0000000032B8: 803C50FF 00000100
	s_cmp_lt_u32 s60, s81                                      // 0000000032C0: BF0A513C
	s_cselect_b32 s58, s58, 0                                  // 0000000032C4: 853A803A
	v_mfma_f32_16x16x32_fp8_fp8 v[72:75], a[56:57], a[8:9], v[72:75]// 0000000032C8: D3F30048 1D221138
	v_mfma_f32_16x16x32_fp8_fp8 v[72:75], a[58:59], a[10:11], v[72:75]// 0000000032D0: D3F30048 1D22153A
	buffer_load_dwordx4 a[44:47], v41, s[24:27], 0 offen offset:1024// 0000000032D8: E05C1400 80862C29
	s_add_u32 s20, s57, s20                                    // 0000000032E0: 80141439
	s_addc_u32 s21, 0, s21                                     // 0000000032E4: 82151580
	v_mfma_f32_16x16x32_fp8_fp8 v[72:75], a[60:61], a[12:13], v[72:75]// 0000000032E8: D3F30048 1D22193C
	s_add_u32 s84, s83, s84                                    // 0000000032F0: 80545453
	s_addc_u32 s85, 0, s85                                     // 0000000032F4: 82555580
	v_mfma_f32_16x16x32_fp8_fp8 v[72:75], a[62:63], a[14:15], v[72:75]// 0000000032F8: D3F30048 1D221D3E
	s_add_u32 s24, s58, s24                                    // 000000003300: 8018183A
	s_addc_u32 s25, 0, s25                                     // 000000003304: 82191980
	s_addk_i32 s80, 0x80                                       // 000000003308: B7500080
	s_cmp_lt_i32 s80, s81                                      // 00000000330C: BF045150
	s_cbranch_scc0 label_02C6                                  // 000000003310: BF840081
	s_waitcnt vmcnt(2) lgkmcnt(0)                              // 000000003314: BF8C0072
	s_barrier                                                  // 000000003318: BF8A0000
	v_mfma_f32_16x16x32_fp8_fp8 v[44:47], a[32:33], a[16:17], v[44:47]// 00000000331C: D3F3002C 1CB22120
	v_mfma_f32_16x16x32_fp8_fp8 v[44:47], a[34:35], a[18:19], v[44:47]// 000000003324: D3F3002C 1CB22522
	buffer_load_dwordx4 a[48:51], v40, s[84:87], 0 offen       // 00000000332C: E05C1000 80953028
	v_mfma_f32_16x16x32_fp8_fp8 v[44:47], a[36:37], a[20:21], v[44:47]// 000000003334: D3F3002C 1CB22924
	v_mfma_f32_16x16x32_fp8_fp8 v[44:47], a[38:39], a[22:23], v[44:47]// 00000000333C: D3F3002C 1CB22D26
	v_mfma_f32_16x16x32_fp8_fp8 v[48:51], a[32:33], a[24:25], v[48:51]// 000000003344: D3F30030 1CC23120
	v_mfma_f32_16x16x32_fp8_fp8 v[48:51], a[34:35], a[26:27], v[48:51]// 00000000334C: D3F30030 1CC23522
	buffer_load_dwordx4 a[52:55], v40, s[84:87], 0 offen offset:1024// 000000003354: E05C1400 80953428
	v_mfma_f32_16x16x32_fp8_fp8 v[48:51], a[36:37], a[28:29], v[48:51]// 00000000335C: D3F30030 1CC23924
	v_mfma_f32_16x16x32_fp8_fp8 v[48:51], a[38:39], a[30:31], v[48:51]// 000000003364: D3F30030 1CC23D26
	s_waitcnt vmcnt(2)                                         // 00000000336C: BF8C0F72
	v_mfma_f32_16x16x32_fp8_fp8 v[52:55], a[40:41], a[16:17], v[52:55]// 000000003370: D3F30034 1CD22128
	v_mfma_f32_16x16x32_fp8_fp8 v[52:55], a[42:43], a[18:19], v[52:55]// 000000003378: D3F30034 1CD2252A
	buffer_load_dwordx4 a[56:59], v41, s[84:87], 0 offen       // 000000003380: E05C1000 80953829
	v_mfma_f32_16x16x32_fp8_fp8 v[52:55], a[44:45], a[20:21], v[52:55]// 000000003388: D3F30034 1CD2292C
	v_mfma_f32_16x16x32_fp8_fp8 v[52:55], a[46:47], a[22:23], v[52:55]// 000000003390: D3F30034 1CD22D2E
	v_mfma_f32_16x16x32_fp8_fp8 v[56:59], a[40:41], a[24:25], v[56:59]// 000000003398: D3F30038 1CE23128
	v_mfma_f32_16x16x32_fp8_fp8 v[56:59], a[42:43], a[26:27], v[56:59]// 0000000033A0: D3F30038 1CE2352A
	buffer_load_dwordx4 a[60:63], v41, s[84:87], 0 offen offset:1024// 0000000033A8: E05C1400 80953C29
	buffer_load_dword v36, s[20:23], 0 offen lds               // 0000000033B0: E0511000 80050024
	s_add_u32 m0, 0x100, s49                                   // 0000000033B8: 807C31FF 00000100
	s_add_u32 s60, 0x80, s80                                   // 0000000033C0: 803C50FF 00000080
	s_cmp_lt_u32 s60, s81                                      // 0000000033C8: BF0A513C
	s_cselect_b32 s83, s83, 0                                  // 0000000033CC: 85538053
	v_mfma_f32_16x16x32_fp8_fp8 v[56:59], a[44:45], a[28:29], v[56:59]// 0000000033D0: D3F30038 1CE2392C
	v_mfma_f32_16x16x32_fp8_fp8 v[56:59], a[46:47], a[30:31], v[56:59]// 0000000033D8: D3F30038 1CE23D2E
	buffer_load_dword v37, s[20:23], 0 offen lds               // 0000000033E0: E0511000 80050025
	s_add_u32 m0, 0x200, s49                                   // 0000000033E8: 807C31FF 00000200
	buffer_load_dword v38, s[20:23], 0 offen lds               // 0000000033F0: E0511000 80050026
	s_add_u32 m0, 0x300, s49                                   // 0000000033F8: 807C31FF 00000300
	buffer_load_dword v39, s[20:23], 0 offen lds               // 000000003400: E0511000 80050027
	s_add_u32 m0, 0, s48                                       // 000000003408: 807C3080
	s_waitcnt vmcnt(4)                                         // 00000000340C: BF8C0F74
	v_mfma_f32_16x16x32_fp8_fp8 v[60:63], a[48:49], a[16:17], v[60:63]// 000000003410: D3F3003C 1CF22130
	v_mfma_f32_16x16x32_fp8_fp8 v[60:63], a[50:51], a[18:19], v[60:63]// 000000003418: D3F3003C 1CF22532
	buffer_load_dwordx4 a[32:35], v40, s[24:27], 0 offen       // 000000003420: E05C1000 80862028
	v_mfma_f32_16x16x32_fp8_fp8 v[60:63], a[52:53], a[20:21], v[60:63]// 000000003428: D3F3003C 1CF22934
	v_mfma_f32_16x16x32_fp8_fp8 v[60:63], a[54:55], a[22:23], v[60:63]// 000000003430: D3F3003C 1CF22D36
	ds_read_b128 a[0:3], v2                                    // 000000003438: DBFE0000 00000002
	ds_read_b128 a[4:7], v2 offset:64                          // 000000003440: DBFE0040 04000002
	v_mfma_f32_16x16x32_fp8_fp8 v[68:71], a[56:57], a[16:17], v[68:71]// 000000003448: D3F30044 1D122138
	v_mfma_f32_16x16x32_fp8_fp8 v[68:71], a[58:59], a[18:19], v[68:71]// 000000003450: D3F30044 1D12253A
	buffer_load_dwordx4 a[36:39], v40, s[24:27], 0 offen offset:1024// 000000003458: E05C1400 80862428
	v_mfma_f32_16x16x32_fp8_fp8 v[68:71], a[60:61], a[20:21], v[68:71]// 000000003460: D3F30044 1D12293C
	v_mfma_f32_16x16x32_fp8_fp8 v[68:71], a[62:63], a[22:23], v[68:71]// 000000003468: D3F30044 1D122D3E
	ds_read_b128 a[8:11], v2 offset:512                        // 000000003470: DBFE0200 08000002
	ds_read_b128 a[12:15], v2 offset:576                       // 000000003478: DBFE0240 0C000002
	v_mfma_f32_16x16x32_fp8_fp8 v[64:67], a[48:49], a[24:25], v[64:67]// 000000003480: D3F30040 1D023130
	v_mfma_f32_16x16x32_fp8_fp8 v[64:67], a[50:51], a[26:27], v[64:67]// 000000003488: D3F30040 1D023532
	buffer_load_dwordx4 a[40:43], v41, s[24:27], 0 offen       // 000000003490: E05C1000 80862829
	v_mfma_f32_16x16x32_fp8_fp8 v[64:67], a[52:53], a[28:29], v[64:67]// 000000003498: D3F30040 1D023934
	s_add_u32 s60, 0x180, s80                                  // 0000000034A0: 803C50FF 00000180
	s_cmp_lt_u32 s60, s81                                      // 0000000034A8: BF0A513C
	s_cselect_b32 s57, s57, 0                                  // 0000000034AC: 85398039
	v_mfma_f32_16x16x32_fp8_fp8 v[64:67], a[54:55], a[30:31], v[64:67]// 0000000034B0: D3F30040 1D023D36
	s_add_u32 s60, 0x100, s80                                  // 0000000034B8: 803C50FF 00000100
	s_cmp_lt_u32 s60, s81                                      // 0000000034C0: BF0A513C
	s_cselect_b32 s58, s58, 0                                  // 0000000034C4: 853A803A
	v_mfma_f32_16x16x32_fp8_fp8 v[72:75], a[56:57], a[24:25], v[72:75]// 0000000034C8: D3F30048 1D223138
	v_mfma_f32_16x16x32_fp8_fp8 v[72:75], a[58:59], a[26:27], v[72:75]// 0000000034D0: D3F30048 1D22353A
	buffer_load_dwordx4 a[44:47], v41, s[24:27], 0 offen offset:1024// 0000000034D8: E05C1400 80862C29
	s_add_u32 s20, s57, s20                                    // 0000000034E0: 80141439
	s_addc_u32 s21, 0, s21                                     // 0000000034E4: 82151580
	v_mfma_f32_16x16x32_fp8_fp8 v[72:75], a[60:61], a[28:29], v[72:75]// 0000000034E8: D3F30048 1D22393C
	s_add_u32 s84, s83, s84                                    // 0000000034F0: 80545453
	s_addc_u32 s85, 0, s85                                     // 0000000034F4: 82555580
	v_mfma_f32_16x16x32_fp8_fp8 v[72:75], a[62:63], a[30:31], v[72:75]// 0000000034F8: D3F30048 1D223D3E
	s_add_u32 s24, s58, s24                                    // 000000003500: 8018183A
	s_addc_u32 s25, 0, s25                                     // 000000003504: 82191980
	s_addk_i32 s80, 0x80                                       // 000000003508: B7500080
	s_cmp_lt_i32 s80, s81                                      // 00000000350C: BF045150
	s_cbranch_scc0 label_02C6                                  // 000000003510: BF840001
	s_branch label_01C5                                        // 000000003514: BF82FEFF

0000000000003518 <label_02C6>:
	v_mul_f32_dpp v44, v24, v44 row_newbcast:0 row_mask:0xf bank_mask:0xf// 000000003518: 0A5858FA FF015018
	v_mul_f32_dpp v45, v24, v45 row_newbcast:1 row_mask:0xf bank_mask:0xf// 000000003520: 0A5A5AFA FF015118
	v_mul_f32_dpp v46, v24, v46 row_newbcast:2 row_mask:0xf bank_mask:0xf// 000000003528: 0A5C5CFA FF015218
	v_mul_f32_dpp v47, v24, v47 row_newbcast:3 row_mask:0xf bank_mask:0xf// 000000003530: 0A5E5EFA FF015318
	v_mul_f32_dpp v48, v24, v48 row_newbcast:0 row_mask:0xf bank_mask:0xf// 000000003538: 0A6060FA FF015018
	v_mul_f32_dpp v49, v24, v49 row_newbcast:1 row_mask:0xf bank_mask:0xf// 000000003540: 0A6262FA FF015118
	v_mul_f32_dpp v50, v24, v50 row_newbcast:2 row_mask:0xf bank_mask:0xf// 000000003548: 0A6464FA FF015218
	v_mul_f32_dpp v51, v24, v51 row_newbcast:3 row_mask:0xf bank_mask:0xf// 000000003550: 0A6666FA FF015318
	v_mul_f32_dpp v52, v24, v52 row_newbcast:4 row_mask:0xf bank_mask:0xf// 000000003558: 0A6868FA FF015418
	v_mul_f32_dpp v53, v24, v53 row_newbcast:5 row_mask:0xf bank_mask:0xf// 000000003560: 0A6A6AFA FF015518
	v_mul_f32_dpp v54, v24, v54 row_newbcast:6 row_mask:0xf bank_mask:0xf// 000000003568: 0A6C6CFA FF015618
	v_mul_f32_dpp v55, v24, v55 row_newbcast:7 row_mask:0xf bank_mask:0xf// 000000003570: 0A6E6EFA FF015718
	v_mul_f32_dpp v56, v24, v56 row_newbcast:4 row_mask:0xf bank_mask:0xf// 000000003578: 0A7070FA FF015418
	v_mul_f32_dpp v57, v24, v57 row_newbcast:5 row_mask:0xf bank_mask:0xf// 000000003580: 0A7272FA FF015518
	v_mul_f32_dpp v58, v24, v58 row_newbcast:6 row_mask:0xf bank_mask:0xf// 000000003588: 0A7474FA FF015618
	v_mul_f32_dpp v59, v24, v59 row_newbcast:7 row_mask:0xf bank_mask:0xf// 000000003590: 0A7676FA FF015718
	v_mul_f32_dpp v60, v26, v60 row_newbcast:0 row_mask:0xf bank_mask:0xf// 000000003598: 0A7878FA FF01501A
	v_mul_f32_dpp v61, v26, v61 row_newbcast:1 row_mask:0xf bank_mask:0xf// 0000000035A0: 0A7A7AFA FF01511A
	v_mul_f32_dpp v62, v26, v62 row_newbcast:2 row_mask:0xf bank_mask:0xf// 0000000035A8: 0A7C7CFA FF01521A
	v_mul_f32_dpp v63, v26, v63 row_newbcast:3 row_mask:0xf bank_mask:0xf// 0000000035B0: 0A7E7EFA FF01531A
	v_mul_f32_dpp v64, v26, v64 row_newbcast:0 row_mask:0xf bank_mask:0xf// 0000000035B8: 0A8080FA FF01501A
	v_mul_f32_dpp v65, v26, v65 row_newbcast:1 row_mask:0xf bank_mask:0xf// 0000000035C0: 0A8282FA FF01511A
	v_mul_f32_dpp v66, v26, v66 row_newbcast:2 row_mask:0xf bank_mask:0xf// 0000000035C8: 0A8484FA FF01521A
	v_mul_f32_dpp v67, v26, v67 row_newbcast:3 row_mask:0xf bank_mask:0xf// 0000000035D0: 0A8686FA FF01531A
	v_mul_f32_dpp v68, v26, v68 row_newbcast:4 row_mask:0xf bank_mask:0xf// 0000000035D8: 0A8888FA FF01541A
	v_mul_f32_dpp v69, v26, v69 row_newbcast:5 row_mask:0xf bank_mask:0xf// 0000000035E0: 0A8A8AFA FF01551A
	v_mul_f32_dpp v70, v26, v70 row_newbcast:6 row_mask:0xf bank_mask:0xf// 0000000035E8: 0A8C8CFA FF01561A
	v_mul_f32_dpp v71, v26, v71 row_newbcast:7 row_mask:0xf bank_mask:0xf// 0000000035F0: 0A8E8EFA FF01571A
	v_mul_f32_dpp v72, v26, v72 row_newbcast:4 row_mask:0xf bank_mask:0xf// 0000000035F8: 0A9090FA FF01541A
	v_mul_f32_dpp v73, v26, v73 row_newbcast:5 row_mask:0xf bank_mask:0xf// 000000003600: 0A9292FA FF01551A
	v_mul_f32_dpp v74, v26, v74 row_newbcast:6 row_mask:0xf bank_mask:0xf// 000000003608: 0A9494FA FF01561A
	v_mul_f32_dpp v75, v26, v75 row_newbcast:7 row_mask:0xf bank_mask:0xf// 000000003610: 0A9696FA FF01571A
	v_mov_b32_e32 v4, v30                                      // 000000003618: 7E08031E
	v_mov_b32_e32 v5, v4                                       // 00000000361C: 7E0A0304
	v_pk_mul_f32 v[44:45], v[4:5], v[44:45]                    // 000000003620: D3B1402C 18025904
	v_pk_mul_f32 v[60:61], v[4:5], v[60:61]                    // 000000003628: D3B1403C 18027904
	v_pk_mul_f32 v[46:47], v[4:5], v[46:47]                    // 000000003630: D3B1402E 18025D04
	v_pk_mul_f32 v[62:63], v[4:5], v[62:63]                    // 000000003638: D3B1403E 18027D04
	v_pk_mul_f32 v[52:53], v[4:5], v[52:53]                    // 000000003640: D3B14034 18026904
	v_pk_mul_f32 v[68:69], v[4:5], v[68:69]                    // 000000003648: D3B14044 18028904
	v_pk_mul_f32 v[54:55], v[4:5], v[54:55]                    // 000000003650: D3B14036 18026D04
	v_pk_mul_f32 v[70:71], v[4:5], v[70:71]                    // 000000003658: D3B14046 18028D04
	v_mov_b32_e32 v4, v31                                      // 000000003660: 7E08031F
	v_mov_b32_e32 v5, v4                                       // 000000003664: 7E0A0304
	v_pk_mul_f32 v[48:49], v[4:5], v[48:49]                    // 000000003668: D3B14030 18026104
	v_pk_mul_f32 v[64:65], v[4:5], v[64:65]                    // 000000003670: D3B14040 18028104
	v_pk_mul_f32 v[50:51], v[4:5], v[50:51]                    // 000000003678: D3B14032 18026504
	v_pk_mul_f32 v[66:67], v[4:5], v[66:67]                    // 000000003680: D3B14042 18028504
	v_pk_mul_f32 v[56:57], v[4:5], v[56:57]                    // 000000003688: D3B14038 18027104
	v_pk_mul_f32 v[72:73], v[4:5], v[72:73]                    // 000000003690: D3B14048 18029104
	v_pk_mul_f32 v[58:59], v[4:5], v[58:59]                    // 000000003698: D3B1403A 18027504
	v_pk_mul_f32 v[74:75], v[4:5], v[74:75]                    // 0000000036A0: D3B1404A 18029504
	s_cmp_eq_u32 s88, 0                                        // 0000000036A8: BF068058
	s_cbranch_scc0 label_059D                                  // 0000000036AC: BF840271
	s_cmp_eq_u32 s89, 0                                        // 0000000036B0: BF068059
	s_cbranch_scc1 label_03D3                                  // 0000000036B4: BF8500A5
	v_mov_b32_e32 v8, v1                                       // 0000000036B8: 7E100301
	v_mov_b32_e32 v9, v1                                       // 0000000036BC: 7E120301
	s_mov_b32 s60, s6                                          // 0000000036C0: BEBC0006
	s_mov_b32 s61, s6                                          // 0000000036C4: BEBD0006
	v_pk_mul_f32 v[4:5], v[44:45], v[44:45]                    // 0000000036C8: D3B14004 1802592C
	v_pk_mul_f32 v[6:7], v[46:47], v[46:47]                    // 0000000036D0: D3B14006 18025D2E
	v_pk_fma_f32 v[4:5], v[4:5], s[78:79], v[8:9]              // 0000000036D8: D3B04004 1C209D04
	v_pk_fma_f32 v[6:7], v[6:7], s[78:79], v[8:9]              // 0000000036E0: D3B04006 1C209D06
	v_pk_mul_f32 v[4:5], v[4:5], v[44:45]                      // 0000000036E8: D3B14004 18025904
	v_pk_mul_f32 v[6:7], v[6:7], v[46:47]                      // 0000000036F0: D3B14006 18025D06
	v_pk_mul_f32 v[4:5], v[4:5], s[60:61]                      // 0000000036F8: D3B14004 18007904
	v_pk_mul_f32 v[6:7], v[6:7], s[60:61]                      // 000000003700: D3B14006 18007906
	v_exp_f32_e32 v4, v4                                       // 000000003708: 7E084104
	v_exp_f32_e32 v5, v5                                       // 00000000370C: 7E0A4105
	v_exp_f32_e32 v6, v6                                       // 000000003710: 7E0C4106
	v_exp_f32_e32 v7, v7                                       // 000000003714: 7E0E4107
	v_add_f32_e64 v4, v4, 1.0                                  // 000000003718: D1010004 0001E504
	v_add_f32_e64 v5, v5, 1.0                                  // 000000003720: D1010005 0001E505
	v_add_f32_e64 v6, v6, 1.0                                  // 000000003728: D1010006 0001E506
	v_add_f32_e64 v7, v7, 1.0                                  // 000000003730: D1010007 0001E507
	v_rcp_f32_e32 v4, v4                                       // 000000003738: 7E084504
	v_rcp_f32_e32 v5, v5                                       // 00000000373C: 7E0A4505
	v_rcp_f32_e32 v6, v6                                       // 000000003740: 7E0C4506
	v_rcp_f32_e32 v7, v7                                       // 000000003744: 7E0E4507
	v_mul_f32_e32 v44, v44, v4                                 // 000000003748: 0A58092C
	v_mul_f32_e32 v45, v45, v5                                 // 00000000374C: 0A5A0B2D
	v_mul_f32_e32 v46, v46, v6                                 // 000000003750: 0A5C0D2E
	v_mul_f32_e32 v47, v47, v7                                 // 000000003754: 0A5E0F2F
	v_mul_f32_e32 v44, v44, v60                                // 000000003758: 0A58792C
	v_mul_f32_e32 v45, v45, v61                                // 00000000375C: 0A5A7B2D
	v_mul_f32_e32 v46, v46, v62                                // 000000003760: 0A5C7D2E
	v_mul_f32_e32 v47, v47, v63                                // 000000003764: 0A5E7F2F
	v_pk_mul_f32 v[4:5], v[48:49], v[48:49]                    // 000000003768: D3B14004 18026130
	v_pk_mul_f32 v[6:7], v[50:51], v[50:51]                    // 000000003770: D3B14006 18026532
	v_pk_fma_f32 v[4:5], v[4:5], s[78:79], v[8:9]              // 000000003778: D3B04004 1C209D04
	v_pk_fma_f32 v[6:7], v[6:7], s[78:79], v[8:9]              // 000000003780: D3B04006 1C209D06
	v_pk_mul_f32 v[4:5], v[4:5], v[48:49]                      // 000000003788: D3B14004 18026104
	v_pk_mul_f32 v[6:7], v[6:7], v[50:51]                      // 000000003790: D3B14006 18026506
	v_pk_mul_f32 v[4:5], v[4:5], s[60:61]                      // 000000003798: D3B14004 18007904
	v_pk_mul_f32 v[6:7], v[6:7], s[60:61]                      // 0000000037A0: D3B14006 18007906
	v_exp_f32_e32 v4, v4                                       // 0000000037A8: 7E084104
	v_exp_f32_e32 v5, v5                                       // 0000000037AC: 7E0A4105
	v_exp_f32_e32 v6, v6                                       // 0000000037B0: 7E0C4106
	v_exp_f32_e32 v7, v7                                       // 0000000037B4: 7E0E4107
	v_add_f32_e64 v4, v4, 1.0                                  // 0000000037B8: D1010004 0001E504
	v_add_f32_e64 v5, v5, 1.0                                  // 0000000037C0: D1010005 0001E505
	v_add_f32_e64 v6, v6, 1.0                                  // 0000000037C8: D1010006 0001E506
	v_add_f32_e64 v7, v7, 1.0                                  // 0000000037D0: D1010007 0001E507
	v_rcp_f32_e32 v4, v4                                       // 0000000037D8: 7E084504
	v_rcp_f32_e32 v5, v5                                       // 0000000037DC: 7E0A4505
	v_rcp_f32_e32 v6, v6                                       // 0000000037E0: 7E0C4506
	v_rcp_f32_e32 v7, v7                                       // 0000000037E4: 7E0E4507
	v_mul_f32_e32 v48, v48, v4                                 // 0000000037E8: 0A600930
	v_mul_f32_e32 v49, v49, v5                                 // 0000000037EC: 0A620B31
	v_mul_f32_e32 v50, v50, v6                                 // 0000000037F0: 0A640D32
	v_mul_f32_e32 v51, v51, v7                                 // 0000000037F4: 0A660F33
	v_mul_f32_e32 v48, v48, v64                                // 0000000037F8: 0A608130
	v_mul_f32_e32 v49, v49, v65                                // 0000000037FC: 0A628331
	v_mul_f32_e32 v50, v50, v66                                // 000000003800: 0A648532
	v_mul_f32_e32 v51, v51, v67                                // 000000003804: 0A668733
	v_pk_mul_f32 v[4:5], v[52:53], v[52:53]                    // 000000003808: D3B14004 18026934
	v_pk_mul_f32 v[6:7], v[54:55], v[54:55]                    // 000000003810: D3B14006 18026D36
	v_pk_fma_f32 v[4:5], v[4:5], s[78:79], v[8:9]              // 000000003818: D3B04004 1C209D04
	v_pk_fma_f32 v[6:7], v[6:7], s[78:79], v[8:9]              // 000000003820: D3B04006 1C209D06
	v_pk_mul_f32 v[4:5], v[4:5], v[52:53]                      // 000000003828: D3B14004 18026904
	v_pk_mul_f32 v[6:7], v[6:7], v[54:55]                      // 000000003830: D3B14006 18026D06
	v_pk_mul_f32 v[4:5], v[4:5], s[60:61]                      // 000000003838: D3B14004 18007904
	v_pk_mul_f32 v[6:7], v[6:7], s[60:61]                      // 000000003840: D3B14006 18007906
	v_exp_f32_e32 v4, v4                                       // 000000003848: 7E084104
	v_exp_f32_e32 v5, v5                                       // 00000000384C: 7E0A4105
	v_exp_f32_e32 v6, v6                                       // 000000003850: 7E0C4106
	v_exp_f32_e32 v7, v7                                       // 000000003854: 7E0E4107
	v_add_f32_e64 v4, v4, 1.0                                  // 000000003858: D1010004 0001E504
	v_add_f32_e64 v5, v5, 1.0                                  // 000000003860: D1010005 0001E505
	v_add_f32_e64 v6, v6, 1.0                                  // 000000003868: D1010006 0001E506
	v_add_f32_e64 v7, v7, 1.0                                  // 000000003870: D1010007 0001E507
	v_rcp_f32_e32 v4, v4                                       // 000000003878: 7E084504
	v_rcp_f32_e32 v5, v5                                       // 00000000387C: 7E0A4505
	v_rcp_f32_e32 v6, v6                                       // 000000003880: 7E0C4506
	v_rcp_f32_e32 v7, v7                                       // 000000003884: 7E0E4507
	v_mul_f32_e32 v52, v52, v4                                 // 000000003888: 0A680934
	v_mul_f32_e32 v53, v53, v5                                 // 00000000388C: 0A6A0B35
	v_mul_f32_e32 v54, v54, v6                                 // 000000003890: 0A6C0D36
	v_mul_f32_e32 v55, v55, v7                                 // 000000003894: 0A6E0F37
	v_mul_f32_e32 v52, v52, v68                                // 000000003898: 0A688934
	v_mul_f32_e32 v53, v53, v69                                // 00000000389C: 0A6A8B35
	v_mul_f32_e32 v54, v54, v70                                // 0000000038A0: 0A6C8D36
	v_mul_f32_e32 v55, v55, v71                                // 0000000038A4: 0A6E8F37
	v_pk_mul_f32 v[4:5], v[56:57], v[56:57]                    // 0000000038A8: D3B14004 18027138
	v_pk_mul_f32 v[6:7], v[58:59], v[58:59]                    // 0000000038B0: D3B14006 1802753A
	v_pk_fma_f32 v[4:5], v[4:5], s[78:79], v[8:9]              // 0000000038B8: D3B04004 1C209D04
	v_pk_fma_f32 v[6:7], v[6:7], s[78:79], v[8:9]              // 0000000038C0: D3B04006 1C209D06
	v_pk_mul_f32 v[4:5], v[4:5], v[56:57]                      // 0000000038C8: D3B14004 18027104
	v_pk_mul_f32 v[6:7], v[6:7], v[58:59]                      // 0000000038D0: D3B14006 18027506
	v_pk_mul_f32 v[4:5], v[4:5], s[60:61]                      // 0000000038D8: D3B14004 18007904
	v_pk_mul_f32 v[6:7], v[6:7], s[60:61]                      // 0000000038E0: D3B14006 18007906
	v_exp_f32_e32 v4, v4                                       // 0000000038E8: 7E084104
	v_exp_f32_e32 v5, v5                                       // 0000000038EC: 7E0A4105
	v_exp_f32_e32 v6, v6                                       // 0000000038F0: 7E0C4106
	v_exp_f32_e32 v7, v7                                       // 0000000038F4: 7E0E4107
	v_add_f32_e64 v4, v4, 1.0                                  // 0000000038F8: D1010004 0001E504
	v_add_f32_e64 v5, v5, 1.0                                  // 000000003900: D1010005 0001E505
	v_add_f32_e64 v6, v6, 1.0                                  // 000000003908: D1010006 0001E506
	v_add_f32_e64 v7, v7, 1.0                                  // 000000003910: D1010007 0001E507
	v_rcp_f32_e32 v4, v4                                       // 000000003918: 7E084504
	v_rcp_f32_e32 v5, v5                                       // 00000000391C: 7E0A4505
	v_rcp_f32_e32 v6, v6                                       // 000000003920: 7E0C4506
	v_rcp_f32_e32 v7, v7                                       // 000000003924: 7E0E4507
	v_mul_f32_e32 v56, v56, v4                                 // 000000003928: 0A700938
	v_mul_f32_e32 v57, v57, v5                                 // 00000000392C: 0A720B39
	v_mul_f32_e32 v58, v58, v6                                 // 000000003930: 0A740D3A
	v_mul_f32_e32 v59, v59, v7                                 // 000000003934: 0A760F3B
	v_mul_f32_e32 v56, v56, v72                                // 000000003938: 0A709138
	v_mul_f32_e32 v57, v57, v73                                // 00000000393C: 0A729339
	v_mul_f32_e32 v58, v58, v74                                // 000000003940: 0A74953A
	v_mul_f32_e32 v59, v59, v75                                // 000000003944: 0A76973B
	s_branch label_0453                                        // 000000003948: BF820080

000000000000394c <label_03D3>:
	v_mul_f32_e64 v4, -v44, s6                                 // 00000000394C: D1050004 20000D2C
	v_mul_f32_e64 v5, -v45, s6                                 // 000000003954: D1050005 20000D2D
	v_mul_f32_e64 v6, -v46, s6                                 // 00000000395C: D1050006 20000D2E
	v_mul_f32_e64 v7, -v47, s6                                 // 000000003964: D1050007 20000D2F
	v_exp_f32_e32 v4, v4                                       // 00000000396C: 7E084104
	v_exp_f32_e32 v5, v5                                       // 000000003970: 7E0A4105
	v_exp_f32_e32 v6, v6                                       // 000000003974: 7E0C4106
	v_exp_f32_e32 v7, v7                                       // 000000003978: 7E0E4107
	v_add_f32_e64 v4, v4, 1.0                                  // 00000000397C: D1010004 0001E504
	v_add_f32_e64 v5, v5, 1.0                                  // 000000003984: D1010005 0001E505
	v_add_f32_e64 v6, v6, 1.0                                  // 00000000398C: D1010006 0001E506
	v_add_f32_e64 v7, v7, 1.0                                  // 000000003994: D1010007 0001E507
	v_rcp_f32_e32 v4, v4                                       // 00000000399C: 7E084504
	v_rcp_f32_e32 v5, v5                                       // 0000000039A0: 7E0A4505
	v_rcp_f32_e32 v6, v6                                       // 0000000039A4: 7E0C4506
	v_rcp_f32_e32 v7, v7                                       // 0000000039A8: 7E0E4507
	v_mul_f32_e32 v44, v44, v4                                 // 0000000039AC: 0A58092C
	v_mul_f32_e32 v45, v45, v5                                 // 0000000039B0: 0A5A0B2D
	v_mul_f32_e32 v46, v46, v6                                 // 0000000039B4: 0A5C0D2E
	v_mul_f32_e32 v47, v47, v7                                 // 0000000039B8: 0A5E0F2F
	v_mul_f32_e32 v44, v44, v60                                // 0000000039BC: 0A58792C
	v_mul_f32_e32 v45, v45, v61                                // 0000000039C0: 0A5A7B2D
	v_mul_f32_e32 v46, v46, v62                                // 0000000039C4: 0A5C7D2E
	v_mul_f32_e32 v47, v47, v63                                // 0000000039C8: 0A5E7F2F
	v_mul_f32_e64 v4, -v48, s6                                 // 0000000039CC: D1050004 20000D30
	v_mul_f32_e64 v5, -v49, s6                                 // 0000000039D4: D1050005 20000D31
	v_mul_f32_e64 v6, -v50, s6                                 // 0000000039DC: D1050006 20000D32
	v_mul_f32_e64 v7, -v51, s6                                 // 0000000039E4: D1050007 20000D33
	v_exp_f32_e32 v4, v4                                       // 0000000039EC: 7E084104
	v_exp_f32_e32 v5, v5                                       // 0000000039F0: 7E0A4105
	v_exp_f32_e32 v6, v6                                       // 0000000039F4: 7E0C4106
	v_exp_f32_e32 v7, v7                                       // 0000000039F8: 7E0E4107
	v_add_f32_e64 v4, v4, 1.0                                  // 0000000039FC: D1010004 0001E504
	v_add_f32_e64 v5, v5, 1.0                                  // 000000003A04: D1010005 0001E505
	v_add_f32_e64 v6, v6, 1.0                                  // 000000003A0C: D1010006 0001E506
	v_add_f32_e64 v7, v7, 1.0                                  // 000000003A14: D1010007 0001E507
	v_rcp_f32_e32 v4, v4                                       // 000000003A1C: 7E084504
	v_rcp_f32_e32 v5, v5                                       // 000000003A20: 7E0A4505
	v_rcp_f32_e32 v6, v6                                       // 000000003A24: 7E0C4506
	v_rcp_f32_e32 v7, v7                                       // 000000003A28: 7E0E4507
	v_mul_f32_e32 v48, v48, v4                                 // 000000003A2C: 0A600930
	v_mul_f32_e32 v49, v49, v5                                 // 000000003A30: 0A620B31
	v_mul_f32_e32 v50, v50, v6                                 // 000000003A34: 0A640D32
	v_mul_f32_e32 v51, v51, v7                                 // 000000003A38: 0A660F33
	v_mul_f32_e32 v48, v48, v64                                // 000000003A3C: 0A608130
	v_mul_f32_e32 v49, v49, v65                                // 000000003A40: 0A628331
	v_mul_f32_e32 v50, v50, v66                                // 000000003A44: 0A648532
	v_mul_f32_e32 v51, v51, v67                                // 000000003A48: 0A668733
	v_mul_f32_e64 v4, -v52, s6                                 // 000000003A4C: D1050004 20000D34
	v_mul_f32_e64 v5, -v53, s6                                 // 000000003A54: D1050005 20000D35
	v_mul_f32_e64 v6, -v54, s6                                 // 000000003A5C: D1050006 20000D36
	v_mul_f32_e64 v7, -v55, s6                                 // 000000003A64: D1050007 20000D37
	v_exp_f32_e32 v4, v4                                       // 000000003A6C: 7E084104
	v_exp_f32_e32 v5, v5                                       // 000000003A70: 7E0A4105
	v_exp_f32_e32 v6, v6                                       // 000000003A74: 7E0C4106
	v_exp_f32_e32 v7, v7                                       // 000000003A78: 7E0E4107
	v_add_f32_e64 v4, v4, 1.0                                  // 000000003A7C: D1010004 0001E504
	v_add_f32_e64 v5, v5, 1.0                                  // 000000003A84: D1010005 0001E505
	v_add_f32_e64 v6, v6, 1.0                                  // 000000003A8C: D1010006 0001E506
	v_add_f32_e64 v7, v7, 1.0                                  // 000000003A94: D1010007 0001E507
	v_rcp_f32_e32 v4, v4                                       // 000000003A9C: 7E084504
	v_rcp_f32_e32 v5, v5                                       // 000000003AA0: 7E0A4505
	v_rcp_f32_e32 v6, v6                                       // 000000003AA4: 7E0C4506
	v_rcp_f32_e32 v7, v7                                       // 000000003AA8: 7E0E4507
	v_mul_f32_e32 v52, v52, v4                                 // 000000003AAC: 0A680934
	v_mul_f32_e32 v53, v53, v5                                 // 000000003AB0: 0A6A0B35
	v_mul_f32_e32 v54, v54, v6                                 // 000000003AB4: 0A6C0D36
	v_mul_f32_e32 v55, v55, v7                                 // 000000003AB8: 0A6E0F37
	v_mul_f32_e32 v52, v52, v68                                // 000000003ABC: 0A688934
	v_mul_f32_e32 v53, v53, v69                                // 000000003AC0: 0A6A8B35
	v_mul_f32_e32 v54, v54, v70                                // 000000003AC4: 0A6C8D36
	v_mul_f32_e32 v55, v55, v71                                // 000000003AC8: 0A6E8F37
	v_mul_f32_e64 v4, -v56, s6                                 // 000000003ACC: D1050004 20000D38
	v_mul_f32_e64 v5, -v57, s6                                 // 000000003AD4: D1050005 20000D39
	v_mul_f32_e64 v6, -v58, s6                                 // 000000003ADC: D1050006 20000D3A
	v_mul_f32_e64 v7, -v59, s6                                 // 000000003AE4: D1050007 20000D3B
	v_exp_f32_e32 v4, v4                                       // 000000003AEC: 7E084104
	v_exp_f32_e32 v5, v5                                       // 000000003AF0: 7E0A4105
	v_exp_f32_e32 v6, v6                                       // 000000003AF4: 7E0C4106
	v_exp_f32_e32 v7, v7                                       // 000000003AF8: 7E0E4107
	v_add_f32_e64 v4, v4, 1.0                                  // 000000003AFC: D1010004 0001E504
	v_add_f32_e64 v5, v5, 1.0                                  // 000000003B04: D1010005 0001E505
	v_add_f32_e64 v6, v6, 1.0                                  // 000000003B0C: D1010006 0001E506
	v_add_f32_e64 v7, v7, 1.0                                  // 000000003B14: D1010007 0001E507
	v_rcp_f32_e32 v4, v4                                       // 000000003B1C: 7E084504
	v_rcp_f32_e32 v5, v5                                       // 000000003B20: 7E0A4505
	v_rcp_f32_e32 v6, v6                                       // 000000003B24: 7E0C4506
	v_rcp_f32_e32 v7, v7                                       // 000000003B28: 7E0E4507
	v_mul_f32_e32 v56, v56, v4                                 // 000000003B2C: 0A700938
	v_mul_f32_e32 v57, v57, v5                                 // 000000003B30: 0A720B39
	v_mul_f32_e32 v58, v58, v6                                 // 000000003B34: 0A740D3A
	v_mul_f32_e32 v59, v59, v7                                 // 000000003B38: 0A760F3B
	v_mul_f32_e32 v56, v56, v72                                // 000000003B3C: 0A709138
	v_mul_f32_e32 v57, v57, v73                                // 000000003B40: 0A729339
	v_mul_f32_e32 v58, v58, v74                                // 000000003B44: 0A74953A
	v_mul_f32_e32 v59, v59, v75                                // 000000003B48: 0A76973B

0000000000003b4c <label_0453>:
	v_cmp_u_f32_e64 s[46:47], v44, v44                         // 000000003B4C: D048002E 0002592C
	v_add3_u32 v16, v44, v19, 1                                // 000000003B54: D1FF0010 0206272C
	v_cndmask_b32_e64 v4, v16, v18, s[46:47]                   // 000000003B5C: D1000004 00BA2510
	v_cmp_u_f32_e64 s[46:47], v45, v45                         // 000000003B64: D048002E 00025B2D
	v_add3_u32 v16, v45, v19, 1                                // 000000003B6C: D1FF0010 0206272D
	v_cndmask_b32_e64 v5, v16, v18, s[46:47]                   // 000000003B74: D1000005 00BA2510
	v_perm_b32 v44, v5, v4, s52                                // 000000003B7C: D1ED002C 00D20905
	v_cmp_u_f32_e64 s[46:47], v46, v46                         // 000000003B84: D048002E 00025D2E
	v_add3_u32 v16, v46, v19, 1                                // 000000003B8C: D1FF0010 0206272E
	v_cndmask_b32_e64 v4, v16, v18, s[46:47]                   // 000000003B94: D1000004 00BA2510
	v_cmp_u_f32_e64 s[46:47], v47, v47                         // 000000003B9C: D048002E 00025F2F
	v_add3_u32 v16, v47, v19, 1                                // 000000003BA4: D1FF0010 0206272F
	v_cndmask_b32_e64 v5, v16, v18, s[46:47]                   // 000000003BAC: D1000005 00BA2510
	v_perm_b32 v45, v5, v4, s52                                // 000000003BB4: D1ED002D 00D20905
	v_cmp_u_f32_e64 s[46:47], v48, v48                         // 000000003BBC: D048002E 00026130
	v_add3_u32 v16, v48, v19, 1                                // 000000003BC4: D1FF0010 02062730
	v_cndmask_b32_e64 v4, v16, v18, s[46:47]                   // 000000003BCC: D1000004 00BA2510
	v_cmp_u_f32_e64 s[46:47], v49, v49                         // 000000003BD4: D048002E 00026331
	v_add3_u32 v16, v49, v19, 1                                // 000000003BDC: D1FF0010 02062731
	v_cndmask_b32_e64 v5, v16, v18, s[46:47]                   // 000000003BE4: D1000005 00BA2510
	v_perm_b32 v46, v5, v4, s52                                // 000000003BEC: D1ED002E 00D20905
	v_cmp_u_f32_e64 s[46:47], v50, v50                         // 000000003BF4: D048002E 00026532
	v_add3_u32 v16, v50, v19, 1                                // 000000003BFC: D1FF0010 02062732
	v_cndmask_b32_e64 v4, v16, v18, s[46:47]                   // 000000003C04: D1000004 00BA2510
	v_cmp_u_f32_e64 s[46:47], v51, v51                         // 000000003C0C: D048002E 00026733
	v_add3_u32 v16, v51, v19, 1                                // 000000003C14: D1FF0010 02062733
	v_cndmask_b32_e64 v5, v16, v18, s[46:47]                   // 000000003C1C: D1000005 00BA2510
	v_perm_b32 v47, v5, v4, s52                                // 000000003C24: D1ED002F 00D20905
	v_cmp_u_f32_e64 s[46:47], v52, v52                         // 000000003C2C: D048002E 00026934
	v_add3_u32 v16, v52, v19, 1                                // 000000003C34: D1FF0010 02062734
	v_cndmask_b32_e64 v4, v16, v18, s[46:47]                   // 000000003C3C: D1000004 00BA2510
	v_cmp_u_f32_e64 s[46:47], v53, v53                         // 000000003C44: D048002E 00026B35
	v_add3_u32 v16, v53, v19, 1                                // 000000003C4C: D1FF0010 02062735
	v_cndmask_b32_e64 v5, v16, v18, s[46:47]                   // 000000003C54: D1000005 00BA2510
	v_perm_b32 v48, v5, v4, s52                                // 000000003C5C: D1ED0030 00D20905
	v_cmp_u_f32_e64 s[46:47], v54, v54                         // 000000003C64: D048002E 00026D36
	v_add3_u32 v16, v54, v19, 1                                // 000000003C6C: D1FF0010 02062736
	v_cndmask_b32_e64 v4, v16, v18, s[46:47]                   // 000000003C74: D1000004 00BA2510
	v_cmp_u_f32_e64 s[46:47], v55, v55                         // 000000003C7C: D048002E 00026F37
	v_add3_u32 v16, v55, v19, 1                                // 000000003C84: D1FF0010 02062737
	v_cndmask_b32_e64 v5, v16, v18, s[46:47]                   // 000000003C8C: D1000005 00BA2510
	v_perm_b32 v49, v5, v4, s52                                // 000000003C94: D1ED0031 00D20905
	v_cmp_u_f32_e64 s[46:47], v56, v56                         // 000000003C9C: D048002E 00027138
	v_add3_u32 v16, v56, v19, 1                                // 000000003CA4: D1FF0010 02062738
	v_cndmask_b32_e64 v4, v16, v18, s[46:47]                   // 000000003CAC: D1000004 00BA2510
	v_cmp_u_f32_e64 s[46:47], v57, v57                         // 000000003CB4: D048002E 00027339
	v_add3_u32 v16, v57, v19, 1                                // 000000003CBC: D1FF0010 02062739
	v_cndmask_b32_e64 v5, v16, v18, s[46:47]                   // 000000003CC4: D1000005 00BA2510
	v_perm_b32 v50, v5, v4, s52                                // 000000003CCC: D1ED0032 00D20905
	v_cmp_u_f32_e64 s[46:47], v58, v58                         // 000000003CD4: D048002E 0002753A
	v_add3_u32 v16, v58, v19, 1                                // 000000003CDC: D1FF0010 0206273A
	v_cndmask_b32_e64 v4, v16, v18, s[46:47]                   // 000000003CE4: D1000004 00BA2510
	v_cmp_u_f32_e64 s[46:47], v59, v59                         // 000000003CEC: D048002E 0002773B
	v_add3_u32 v16, v59, v19, 1                                // 000000003CF4: D1FF0010 0206273B
	v_cndmask_b32_e64 v5, v16, v18, s[46:47]                   // 000000003CFC: D1000005 00BA2510
	v_perm_b32 v51, v5, v4, s52                                // 000000003D04: D1ED0033 00D20905
	ds_write_b64 v20, v[44:45]                                 // 000000003D0C: D89A0000 00002C14
	ds_write_b64 v20, v[46:47] offset:4352                     // 000000003D14: D89A1100 00002E14
	ds_write_b64 v20, v[48:49] offset:2176                     // 000000003D1C: D89A0880 00003014
	ds_write_b64 v20, v[50:51] offset:6528                     // 000000003D24: D89A1980 00003214
	v_lshrrev_b32_e32 v4, 5, v0                                // 000000003D2C: 20080085
	v_xor_b32_e32 v5, 1, v4                                    // 000000003D30: 2A0A0881
	s_mul_i32 s60, s65, 2                                      // 000000003D34: 923C8241
	s_cmp_eq_u32 s88, 0                                        // 000000003D38: BF068058
	s_cselect_b32 s61, 1, 4                                    // 000000003D3C: 853D8481
	s_mul_i32 s60, s61, s60                                    // 000000003D40: 923C3C3D
	v_readlane_b32 s82, v3, 0                                  // 000000003D44: D2890052 00010103
	s_lshr_b32 s61, s82, 24                                    // 000000003D4C: 8F3D9852
	s_and_b32 s82, s82, 0xffffff                               // 000000003D50: 8652FF52 00FFFFFF
	s_mul_i32 s82, s82, s71                                    // 000000003D58: 92524752
	s_mul_i32 s61, s60, s61                                    // 000000003D5C: 923D3D3C
	s_add_u32 s82, s82, s61                                    // 000000003D60: 80523D52
	v_mul_lo_u32 v6, v5, s82                                   // 000000003D64: D2850006 0000A505
	v_readlane_b32 s82, v3, 1                                  // 000000003D6C: D2890052 00010303
	s_lshr_b32 s61, s82, 24                                    // 000000003D74: 8F3D9852
	s_and_b32 s82, s82, 0xffffff                               // 000000003D78: 8652FF52 00FFFFFF
	s_mul_i32 s82, s82, s71                                    // 000000003D80: 92524752
	s_mul_i32 s61, s60, s61                                    // 000000003D84: 923D3D3C
	s_add_u32 s82, s82, s61                                    // 000000003D88: 80523D52
	v_mul_lo_u32 v7, v4, s82                                   // 000000003D8C: D2850007 0000A504
	v_add_u32_e32 v36, v6, v7                                  // 000000003D94: 68480F06
	v_readlane_b32 s82, v3, 2                                  // 000000003D98: D2890052 00010503
	s_lshr_b32 s61, s82, 24                                    // 000000003DA0: 8F3D9852
	s_and_b32 s82, s82, 0xffffff                               // 000000003DA4: 8652FF52 00FFFFFF
	s_mul_i32 s82, s82, s71                                    // 000000003DAC: 92524752
	s_mul_i32 s61, s60, s61                                    // 000000003DB0: 923D3D3C
	s_add_u32 s82, s82, s61                                    // 000000003DB4: 80523D52
	v_mul_lo_u32 v6, v5, s82                                   // 000000003DB8: D2850006 0000A505
	v_readlane_b32 s82, v3, 3                                  // 000000003DC0: D2890052 00010703
	s_lshr_b32 s61, s82, 24                                    // 000000003DC8: 8F3D9852
	s_and_b32 s82, s82, 0xffffff                               // 000000003DCC: 8652FF52 00FFFFFF
	s_mul_i32 s82, s82, s71                                    // 000000003DD4: 92524752
	s_mul_i32 s61, s60, s61                                    // 000000003DD8: 923D3D3C
	s_add_u32 s82, s82, s61                                    // 000000003DDC: 80523D52
	v_mul_lo_u32 v7, v4, s82                                   // 000000003DE0: D2850007 0000A504
	v_add_u32_e32 v37, v6, v7                                  // 000000003DE8: 684A0F06
	v_readlane_b32 s82, v3, 4                                  // 000000003DEC: D2890052 00010903
	s_lshr_b32 s61, s82, 24                                    // 000000003DF4: 8F3D9852
	s_and_b32 s82, s82, 0xffffff                               // 000000003DF8: 8652FF52 00FFFFFF
	s_mul_i32 s82, s82, s71                                    // 000000003E00: 92524752
	s_mul_i32 s61, s60, s61                                    // 000000003E04: 923D3D3C
	s_add_u32 s82, s82, s61                                    // 000000003E08: 80523D52
	v_mul_lo_u32 v6, v5, s82                                   // 000000003E0C: D2850006 0000A505
	v_readlane_b32 s82, v3, 5                                  // 000000003E14: D2890052 00010B03
	s_lshr_b32 s61, s82, 24                                    // 000000003E1C: 8F3D9852
	s_and_b32 s82, s82, 0xffffff                               // 000000003E20: 8652FF52 00FFFFFF
	s_mul_i32 s82, s82, s71                                    // 000000003E28: 92524752
	s_mul_i32 s61, s60, s61                                    // 000000003E2C: 923D3D3C
	s_add_u32 s82, s82, s61                                    // 000000003E30: 80523D52
	v_mul_lo_u32 v7, v4, s82                                   // 000000003E34: D2850007 0000A504
	v_add_u32_e32 v38, v6, v7                                  // 000000003E3C: 684C0F06
	v_readlane_b32 s82, v3, 6                                  // 000000003E40: D2890052 00010D03
	s_lshr_b32 s61, s82, 24                                    // 000000003E48: 8F3D9852
	s_and_b32 s82, s82, 0xffffff                               // 000000003E4C: 8652FF52 00FFFFFF
	s_mul_i32 s82, s82, s71                                    // 000000003E54: 92524752
	s_mul_i32 s61, s60, s61                                    // 000000003E58: 923D3D3C
	s_add_u32 s82, s82, s61                                    // 000000003E5C: 80523D52
	v_mul_lo_u32 v6, v5, s82                                   // 000000003E60: D2850006 0000A505
	v_readlane_b32 s82, v3, 7                                  // 000000003E68: D2890052 00010F03
	s_lshr_b32 s61, s82, 24                                    // 000000003E70: 8F3D9852
	s_and_b32 s82, s82, 0xffffff                               // 000000003E74: 8652FF52 00FFFFFF
	s_mul_i32 s82, s82, s71                                    // 000000003E7C: 92524752
	s_mul_i32 s61, s60, s61                                    // 000000003E80: 923D3D3C
	s_add_u32 s82, s82, s61                                    // 000000003E84: 80523D52
	v_mul_lo_u32 v7, v4, s82                                   // 000000003E88: D2850007 0000A504
	v_add_u32_e32 v39, v6, v7                                  // 000000003E90: 684E0F06
	v_and_b32_e32 v4, 31, v0                                   // 000000003E94: 2608009F
	v_lshrrev_b32_e32 v4, 1, v4                                // 000000003E98: 20080881
	s_cmp_eq_u32 s88, 0                                        // 000000003E9C: BF068058
	s_cselect_b32 s61, 2, 4                                    // 000000003EA0: 853D8482
	v_mul_lo_u32 v4, v4, s61                                   // 000000003EA4: D2850004 00007B04
	v_and_b32_e64 v5, v0, 1                                    // 000000003EAC: D1130005 00010300
	v_add_u32_e32 v4, v4, v5                                   // 000000003EB4: 68080B04
	v_lshlrev_b32_e32 v4, 2, v4                                // 000000003EB8: 24080882
	v_add_u32_e32 v36, v36, v4                                 // 000000003EBC: 68480924
	v_add_u32_e32 v37, v37, v4                                 // 000000003EC0: 684A0925
	v_add_u32_e32 v38, v38, v4                                 // 000000003EC4: 684C0926
	v_add_u32_e32 v39, v39, v4                                 // 000000003EC8: 684E0927
	s_waitcnt lgkmcnt(0)                                       // 000000003ECC: BF8CC07F
	s_barrier                                                  // 000000003ED0: BF8A0000
	ds_read_b32 v44, v21                                       // 000000003ED4: D86C0000 2C000015
	ds_read_b32 v45, v21 offset:64                             // 000000003EDC: D86C0040 2D000015
	ds_read_b32 v46, v21 offset:2176                           // 000000003EE4: D86C0880 2E000015
	ds_read_b32 v47, v21 offset:2240                           // 000000003EEC: D86C08C0 2F000015
	ds_read_b32 v48, v21 offset:4352                           // 000000003EF4: D86C1100 30000015
	ds_read_b32 v49, v21 offset:4416                           // 000000003EFC: D86C1140 31000015
	ds_read_b32 v50, v21 offset:6528                           // 000000003F04: D86C1980 32000015
	ds_read_b32 v51, v21 offset:6592                           // 000000003F0C: D86C19C0 33000015
	s_waitcnt lgkmcnt(0)                                       // 000000003F14: BF8CC07F
	s_mov_b32 s36, -1                                          // 000000003F18: BEA400C1
	s_mov_b32 s37, -1                                          // 000000003F1C: BEA500C1
	v_mov_b32_e32 v7, 0                                        // 000000003F20: 7E0E0280
	s_or_b32 s9, s9, 0x40000                                   // 000000003F24: 8709FF09 00040000
	s_mov_b64 exec, s[36:37]                                   // 000000003F2C: BEFE0124
	v_mov_b32_e32 v6, v36                                      // 000000003F30: 7E0C0324
	s_mov_b64 s[60:61], 0                                      // 000000003F34: BEBC0180
	v_readlane_b32 s82, v3, 0                                  // 000000003F38: D2890052 00010103
	s_and_b32 s82, s82, 0xffffff                               // 000000003F40: 8652FF52 00FFFFFF
	s_cmp_lt_u32 s82, s66                                      // 000000003F48: BF0A4252
	s_cselect_b32 s20, s36, s60                                // 000000003F4C: 85143C24
	v_readlane_b32 s82, v3, 1                                  // 000000003F50: D2890052 00010303
	s_and_b32 s82, s82, 0xffffff                               // 000000003F58: 8652FF52 00FFFFFF
	s_cmp_lt_u32 s82, s66                                      // 000000003F60: BF0A4252
	s_cselect_b32 s21, s36, s60                                // 000000003F64: 85153C24
	s_mov_b64 exec, s[20:21]                                   // 000000003F68: BEFE0114
	buffer_store_dword v44, v6, s[8:11], 0 offen               // 000000003F6C: E0701000 80022C06
	buffer_store_dword v46, v6, s[8:11], 0 offen offset:128    // 000000003F74: E0701080 80022E06
	s_mov_b64 exec, s[36:37]                                   // 000000003F7C: BEFE0124
	v_mov_b32_e32 v6, v37                                      // 000000003F80: 7E0C0325
	s_mov_b64 s[60:61], 0                                      // 000000003F84: BEBC0180
	v_readlane_b32 s82, v3, 2                                  // 000000003F88: D2890052 00010503
	s_and_b32 s82, s82, 0xffffff                               // 000000003F90: 8652FF52 00FFFFFF
	s_cmp_lt_u32 s82, s66                                      // 000000003F98: BF0A4252
	s_cselect_b32 s20, s36, s60                                // 000000003F9C: 85143C24
	v_readlane_b32 s82, v3, 3                                  // 000000003FA0: D2890052 00010703
	s_and_b32 s82, s82, 0xffffff                               // 000000003FA8: 8652FF52 00FFFFFF
	s_cmp_lt_u32 s82, s66                                      // 000000003FB0: BF0A4252
	s_cselect_b32 s21, s36, s60                                // 000000003FB4: 85153C24
	s_mov_b64 exec, s[20:21]                                   // 000000003FB8: BEFE0114
	buffer_store_dword v45, v6, s[8:11], 0 offen               // 000000003FBC: E0701000 80022D06
	buffer_store_dword v47, v6, s[8:11], 0 offen offset:128    // 000000003FC4: E0701080 80022F06
	s_mov_b64 exec, s[36:37]                                   // 000000003FCC: BEFE0124
	v_mov_b32_e32 v6, v38                                      // 000000003FD0: 7E0C0326
	s_mov_b64 s[60:61], 0                                      // 000000003FD4: BEBC0180
	v_readlane_b32 s82, v3, 4                                  // 000000003FD8: D2890052 00010903
	s_and_b32 s82, s82, 0xffffff                               // 000000003FE0: 8652FF52 00FFFFFF
	s_cmp_lt_u32 s82, s66                                      // 000000003FE8: BF0A4252
	s_cselect_b32 s20, s36, s60                                // 000000003FEC: 85143C24
	v_readlane_b32 s82, v3, 5                                  // 000000003FF0: D2890052 00010B03
	s_and_b32 s82, s82, 0xffffff                               // 000000003FF8: 8652FF52 00FFFFFF
	s_cmp_lt_u32 s82, s66                                      // 000000004000: BF0A4252
	s_cselect_b32 s21, s36, s60                                // 000000004004: 85153C24
	s_mov_b64 exec, s[20:21]                                   // 000000004008: BEFE0114
	buffer_store_dword v48, v6, s[8:11], 0 offen               // 00000000400C: E0701000 80023006
	buffer_store_dword v50, v6, s[8:11], 0 offen offset:128    // 000000004014: E0701080 80023206
	s_mov_b64 exec, s[36:37]                                   // 00000000401C: BEFE0124
	v_mov_b32_e32 v6, v39                                      // 000000004020: 7E0C0327
	s_mov_b64 s[60:61], 0                                      // 000000004024: BEBC0180
	v_readlane_b32 s82, v3, 6                                  // 000000004028: D2890052 00010D03
	s_and_b32 s82, s82, 0xffffff                               // 000000004030: 8652FF52 00FFFFFF
	s_cmp_lt_u32 s82, s66                                      // 000000004038: BF0A4252
	s_cselect_b32 s20, s36, s60                                // 00000000403C: 85143C24
	v_readlane_b32 s82, v3, 7                                  // 000000004040: D2890052 00010F03
	s_and_b32 s82, s82, 0xffffff                               // 000000004048: 8652FF52 00FFFFFF
	s_cmp_lt_u32 s82, s66                                      // 000000004050: BF0A4252
	s_cselect_b32 s21, s36, s60                                // 000000004054: 85153C24
	s_mov_b64 exec, s[20:21]                                   // 000000004058: BEFE0114
	buffer_store_dword v49, v6, s[8:11], 0 offen               // 00000000405C: E0701000 80023106
	buffer_store_dword v51, v6, s[8:11], 0 offen offset:128    // 000000004064: E0701080 80023306
	s_mov_b64 exec, s[36:37]                                   // 00000000406C: BEFE0124
	s_branch label_0DBC                                        // 000000004070: BF82081C

0000000000004074 <label_059D>:
	ds_write_b64 v20, v[44:45]                                 // 000000004074: D89A0000 00002C14
	ds_write_b64 v20, v[48:49] offset:4352                     // 00000000407C: D89A1100 00003014
	ds_write_b64 v20, v[52:53] offset:2176                     // 000000004084: D89A0880 00003414
	ds_write_b64 v20, v[56:57] offset:6528                     // 00000000408C: D89A1980 00003814
	v_lshrrev_b32_e32 v4, 5, v0                                // 000000004094: 20080085
	v_xor_b32_e32 v5, 1, v4                                    // 000000004098: 2A0A0881
	s_mul_i32 s60, s65, 2                                      // 00000000409C: 923C8241
	s_cmp_eq_u32 s88, 0                                        // 0000000040A0: BF068058
	s_cselect_b32 s61, 1, 4                                    // 0000000040A4: 853D8481
	s_mul_i32 s60, s61, s60                                    // 0000000040A8: 923C3C3D
	v_readlane_b32 s82, v3, 0                                  // 0000000040AC: D2890052 00010103
	s_lshr_b32 s61, s82, 24                                    // 0000000040B4: 8F3D9852
	s_and_b32 s82, s82, 0xffffff                               // 0000000040B8: 8652FF52 00FFFFFF
	s_mul_i32 s82, s82, s71                                    // 0000000040C0: 92524752
	s_mul_i32 s61, s60, s61                                    // 0000000040C4: 923D3D3C
	s_add_u32 s82, s82, s61                                    // 0000000040C8: 80523D52
	v_mul_lo_u32 v6, v5, s82                                   // 0000000040CC: D2850006 0000A505
	v_readlane_b32 s82, v3, 1                                  // 0000000040D4: D2890052 00010303
	s_lshr_b32 s61, s82, 24                                    // 0000000040DC: 8F3D9852
	s_and_b32 s82, s82, 0xffffff                               // 0000000040E0: 8652FF52 00FFFFFF
	s_mul_i32 s82, s82, s71                                    // 0000000040E8: 92524752
	s_mul_i32 s61, s60, s61                                    // 0000000040EC: 923D3D3C
	s_add_u32 s82, s82, s61                                    // 0000000040F0: 80523D52
	v_mul_lo_u32 v7, v4, s82                                   // 0000000040F4: D2850007 0000A504
	v_add_u32_e32 v36, v6, v7                                  // 0000000040FC: 68480F06
	v_readlane_b32 s82, v3, 2                                  // 000000004100: D2890052 00010503
	s_lshr_b32 s61, s82, 24                                    // 000000004108: 8F3D9852
	s_and_b32 s82, s82, 0xffffff                               // 00000000410C: 8652FF52 00FFFFFF
	s_mul_i32 s82, s82, s71                                    // 000000004114: 92524752
	s_mul_i32 s61, s60, s61                                    // 000000004118: 923D3D3C
	s_add_u32 s82, s82, s61                                    // 00000000411C: 80523D52
	v_mul_lo_u32 v6, v5, s82                                   // 000000004120: D2850006 0000A505
	v_readlane_b32 s82, v3, 3                                  // 000000004128: D2890052 00010703
	s_lshr_b32 s61, s82, 24                                    // 000000004130: 8F3D9852
	s_and_b32 s82, s82, 0xffffff                               // 000000004134: 8652FF52 00FFFFFF
	s_mul_i32 s82, s82, s71                                    // 00000000413C: 92524752
	s_mul_i32 s61, s60, s61                                    // 000000004140: 923D3D3C
	s_add_u32 s82, s82, s61                                    // 000000004144: 80523D52
	v_mul_lo_u32 v7, v4, s82                                   // 000000004148: D2850007 0000A504
	v_add_u32_e32 v37, v6, v7                                  // 000000004150: 684A0F06
	v_readlane_b32 s82, v3, 4                                  // 000000004154: D2890052 00010903
	s_lshr_b32 s61, s82, 24                                    // 00000000415C: 8F3D9852
	s_and_b32 s82, s82, 0xffffff                               // 000000004160: 8652FF52 00FFFFFF
	s_mul_i32 s82, s82, s71                                    // 000000004168: 92524752
	s_mul_i32 s61, s60, s61                                    // 00000000416C: 923D3D3C
	s_add_u32 s82, s82, s61                                    // 000000004170: 80523D52
	v_mul_lo_u32 v6, v5, s82                                   // 000000004174: D2850006 0000A505
	v_readlane_b32 s82, v3, 5                                  // 00000000417C: D2890052 00010B03
	s_lshr_b32 s61, s82, 24                                    // 000000004184: 8F3D9852
	s_and_b32 s82, s82, 0xffffff                               // 000000004188: 8652FF52 00FFFFFF
	s_mul_i32 s82, s82, s71                                    // 000000004190: 92524752
	s_mul_i32 s61, s60, s61                                    // 000000004194: 923D3D3C
	s_add_u32 s82, s82, s61                                    // 000000004198: 80523D52
	v_mul_lo_u32 v7, v4, s82                                   // 00000000419C: D2850007 0000A504
	v_add_u32_e32 v38, v6, v7                                  // 0000000041A4: 684C0F06
	v_readlane_b32 s82, v3, 6                                  // 0000000041A8: D2890052 00010D03
	s_lshr_b32 s61, s82, 24                                    // 0000000041B0: 8F3D9852
	s_and_b32 s82, s82, 0xffffff                               // 0000000041B4: 8652FF52 00FFFFFF
	s_mul_i32 s82, s82, s71                                    // 0000000041BC: 92524752
	s_mul_i32 s61, s60, s61                                    // 0000000041C0: 923D3D3C
	s_add_u32 s82, s82, s61                                    // 0000000041C4: 80523D52
	v_mul_lo_u32 v6, v5, s82                                   // 0000000041C8: D2850006 0000A505
	v_readlane_b32 s82, v3, 7                                  // 0000000041D0: D2890052 00010F03
	s_lshr_b32 s61, s82, 24                                    // 0000000041D8: 8F3D9852
	s_and_b32 s82, s82, 0xffffff                               // 0000000041DC: 8652FF52 00FFFFFF
	s_mul_i32 s82, s82, s71                                    // 0000000041E4: 92524752
	s_mul_i32 s61, s60, s61                                    // 0000000041E8: 923D3D3C
	s_add_u32 s82, s82, s61                                    // 0000000041EC: 80523D52
	v_mul_lo_u32 v7, v4, s82                                   // 0000000041F0: D2850007 0000A504
	v_add_u32_e32 v39, v6, v7                                  // 0000000041F8: 684E0F06
	v_and_b32_e32 v4, 31, v0                                   // 0000000041FC: 2608009F
	v_lshrrev_b32_e32 v4, 1, v4                                // 000000004200: 20080881
	s_cmp_eq_u32 s88, 0                                        // 000000004204: BF068058
	s_cselect_b32 s61, 2, 4                                    // 000000004208: 853D8482
	v_mul_lo_u32 v4, v4, s61                                   // 00000000420C: D2850004 00007B04
	v_and_b32_e64 v5, v0, 1                                    // 000000004214: D1130005 00010300
	v_add_u32_e32 v4, v4, v5                                   // 00000000421C: 68080B04
	v_lshlrev_b32_e32 v4, 2, v4                                // 000000004220: 24080882
	v_add_u32_e32 v36, v36, v4                                 // 000000004224: 68480924
	v_add_u32_e32 v37, v37, v4                                 // 000000004228: 684A0925
	v_add_u32_e32 v38, v38, v4                                 // 00000000422C: 684C0926
	v_add_u32_e32 v39, v39, v4                                 // 000000004230: 684E0927
	s_waitcnt lgkmcnt(0)                                       // 000000004234: BF8CC07F
	s_barrier                                                  // 000000004238: BF8A0000
	ds_read_b32 v44, v21                                       // 00000000423C: D86C0000 2C000015
	ds_read_b32 v45, v21 offset:64                             // 000000004244: D86C0040 2D000015
	ds_read_b32 v48, v21 offset:2176                           // 00000000424C: D86C0880 30000015
	ds_read_b32 v49, v21 offset:2240                           // 000000004254: D86C08C0 31000015
	ds_read_b32 v52, v21 offset:4352                           // 00000000425C: D86C1100 34000015
	ds_read_b32 v53, v21 offset:4416                           // 000000004264: D86C1140 35000015
	ds_read_b32 v56, v21 offset:6528                           // 00000000426C: D86C1980 38000015
	ds_read_b32 v57, v21 offset:6592                           // 000000004274: D86C19C0 39000015
	s_waitcnt lgkmcnt(0)                                       // 00000000427C: BF8CC07F
	s_mov_b32 s36, -1                                          // 000000004280: BEA400C1
	s_mov_b32 s37, -1                                          // 000000004284: BEA500C1
	v_mov_b32_e32 v7, 0                                        // 000000004288: 7E0E0280
	s_mov_b64 exec, s[36:37]                                   // 00000000428C: BEFE0124
	v_mov_b32_e32 v6, v36                                      // 000000004290: 7E0C0324
	s_mov_b64 s[60:61], 0                                      // 000000004294: BEBC0180
	v_readlane_b32 s82, v3, 0                                  // 000000004298: D2890052 00010103
	s_and_b32 s82, s82, 0xffffff                               // 0000000042A0: 8652FF52 00FFFFFF
	s_cmp_lt_u32 s82, s66                                      // 0000000042A8: BF0A4252
	s_cselect_b32 s20, s36, s60                                // 0000000042AC: 85143C24
	v_readlane_b32 s82, v3, 1                                  // 0000000042B0: D2890052 00010303
	s_and_b32 s82, s82, 0xffffff                               // 0000000042B8: 8652FF52 00FFFFFF
	s_cmp_lt_u32 s82, s66                                      // 0000000042C0: BF0A4252
	s_cselect_b32 s21, s36, s60                                // 0000000042C4: 85153C24
	s_mov_b64 exec, s[20:21]                                   // 0000000042C8: BEFE0114
	global_atomic_add_f32 v6, v44, s[8:9]                      // 0000000042CC: DD348000 00082C06
	global_atomic_add_f32 v6, v48, s[8:9] offset:256           // 0000000042D4: DD348100 00083006
	s_mov_b64 exec, s[36:37]                                   // 0000000042DC: BEFE0124
	v_mov_b32_e32 v6, v37                                      // 0000000042E0: 7E0C0325
	s_mov_b64 s[60:61], 0                                      // 0000000042E4: BEBC0180
	v_readlane_b32 s82, v3, 2                                  // 0000000042E8: D2890052 00010503
	s_and_b32 s82, s82, 0xffffff                               // 0000000042F0: 8652FF52 00FFFFFF
	s_cmp_lt_u32 s82, s66                                      // 0000000042F8: BF0A4252
	s_cselect_b32 s20, s36, s60                                // 0000000042FC: 85143C24
	v_readlane_b32 s82, v3, 3                                  // 000000004300: D2890052 00010703
	s_and_b32 s82, s82, 0xffffff                               // 000000004308: 8652FF52 00FFFFFF
	s_cmp_lt_u32 s82, s66                                      // 000000004310: BF0A4252
	s_cselect_b32 s21, s36, s60                                // 000000004314: 85153C24
	s_mov_b64 exec, s[20:21]                                   // 000000004318: BEFE0114
	global_atomic_add_f32 v6, v45, s[8:9]                      // 00000000431C: DD348000 00082D06
	global_atomic_add_f32 v6, v49, s[8:9] offset:256           // 000000004324: DD348100 00083106
	s_mov_b64 exec, s[36:37]                                   // 00000000432C: BEFE0124
	v_mov_b32_e32 v6, v38                                      // 000000004330: 7E0C0326
	s_mov_b64 s[60:61], 0                                      // 000000004334: BEBC0180
	v_readlane_b32 s82, v3, 4                                  // 000000004338: D2890052 00010903
	s_and_b32 s82, s82, 0xffffff                               // 000000004340: 8652FF52 00FFFFFF
	s_cmp_lt_u32 s82, s66                                      // 000000004348: BF0A4252
	s_cselect_b32 s20, s36, s60                                // 00000000434C: 85143C24
	v_readlane_b32 s82, v3, 5                                  // 000000004350: D2890052 00010B03
	s_and_b32 s82, s82, 0xffffff                               // 000000004358: 8652FF52 00FFFFFF
	s_cmp_lt_u32 s82, s66                                      // 000000004360: BF0A4252
	s_cselect_b32 s21, s36, s60                                // 000000004364: 85153C24
	s_mov_b64 exec, s[20:21]                                   // 000000004368: BEFE0114
	global_atomic_add_f32 v6, v52, s[8:9]                      // 00000000436C: DD348000 00083406
	global_atomic_add_f32 v6, v56, s[8:9] offset:256           // 000000004374: DD348100 00083806
	s_mov_b64 exec, s[36:37]                                   // 00000000437C: BEFE0124
	v_mov_b32_e32 v6, v39                                      // 000000004380: 7E0C0327
	s_mov_b64 s[60:61], 0                                      // 000000004384: BEBC0180
	v_readlane_b32 s82, v3, 6                                  // 000000004388: D2890052 00010D03
	s_and_b32 s82, s82, 0xffffff                               // 000000004390: 8652FF52 00FFFFFF
	s_cmp_lt_u32 s82, s66                                      // 000000004398: BF0A4252
	s_cselect_b32 s20, s36, s60                                // 00000000439C: 85143C24
	v_readlane_b32 s82, v3, 7                                  // 0000000043A0: D2890052 00010F03
	s_and_b32 s82, s82, 0xffffff                               // 0000000043A8: 8652FF52 00FFFFFF
	s_cmp_lt_u32 s82, s66                                      // 0000000043B0: BF0A4252
	s_cselect_b32 s21, s36, s60                                // 0000000043B4: 85153C24
	s_mov_b64 exec, s[20:21]                                   // 0000000043B8: BEFE0114
	global_atomic_add_f32 v6, v53, s[8:9]                      // 0000000043BC: DD348000 00083506
	global_atomic_add_f32 v6, v57, s[8:9] offset:256           // 0000000043C4: DD348100 00083906
	s_mov_b64 exec, s[36:37]                                   // 0000000043CC: BEFE0124
	ds_write_b64 v20, v[46:47]                                 // 0000000043D0: D89A0000 00002E14
	ds_write_b64 v20, v[50:51] offset:4352                     // 0000000043D8: D89A1100 00003214
	ds_write_b64 v20, v[54:55] offset:2176                     // 0000000043E0: D89A0880 00003614
	ds_write_b64 v20, v[58:59] offset:6528                     // 0000000043E8: D89A1980 00003A14
	s_waitcnt lgkmcnt(0)                                       // 0000000043F0: BF8CC07F
	s_barrier                                                  // 0000000043F4: BF8A0000
	ds_read_b32 v46, v21                                       // 0000000043F8: D86C0000 2E000015
	ds_read_b32 v47, v21 offset:64                             // 000000004400: D86C0040 2F000015
	ds_read_b32 v50, v21 offset:2176                           // 000000004408: D86C0880 32000015
	ds_read_b32 v51, v21 offset:2240                           // 000000004410: D86C08C0 33000015
	ds_read_b32 v54, v21 offset:4352                           // 000000004418: D86C1100 36000015
	ds_read_b32 v55, v21 offset:4416                           // 000000004420: D86C1140 37000015
	ds_read_b32 v58, v21 offset:6528                           // 000000004428: D86C1980 3A000015
	ds_read_b32 v59, v21 offset:6592                           // 000000004430: D86C19C0 3B000015
	s_waitcnt lgkmcnt(0)                                       // 000000004438: BF8CC07F
	v_mov_b32_e32 v7, 0                                        // 00000000443C: 7E0E0280
	s_mov_b64 exec, s[36:37]                                   // 000000004440: BEFE0124
	v_mov_b32_e32 v6, v36                                      // 000000004444: 7E0C0324
	s_mov_b64 s[60:61], 0                                      // 000000004448: BEBC0180
	v_readlane_b32 s82, v3, 0                                  // 00000000444C: D2890052 00010103
	s_and_b32 s82, s82, 0xffffff                               // 000000004454: 8652FF52 00FFFFFF
	s_cmp_lt_u32 s82, s66                                      // 00000000445C: BF0A4252
	s_cselect_b32 s20, s36, s60                                // 000000004460: 85143C24
	v_readlane_b32 s82, v3, 1                                  // 000000004464: D2890052 00010303
	s_and_b32 s82, s82, 0xffffff                               // 00000000446C: 8652FF52 00FFFFFF
	s_cmp_lt_u32 s82, s66                                      // 000000004474: BF0A4252
	s_cselect_b32 s21, s36, s60                                // 000000004478: 85153C24
	s_mov_b64 exec, s[20:21]                                   // 00000000447C: BEFE0114
	global_atomic_add_f32 v6, v46, s[8:9] offset:8             // 000000004480: DD348008 00082E06
	global_atomic_add_f32 v6, v50, s[8:9] offset:264           // 000000004488: DD348108 00083206
	s_mov_b64 exec, s[36:37]                                   // 000000004490: BEFE0124
	v_mov_b32_e32 v6, v37                                      // 000000004494: 7E0C0325
	s_mov_b64 s[60:61], 0                                      // 000000004498: BEBC0180
	v_readlane_b32 s82, v3, 2                                  // 00000000449C: D2890052 00010503
	s_and_b32 s82, s82, 0xffffff                               // 0000000044A4: 8652FF52 00FFFFFF
	s_cmp_lt_u32 s82, s66                                      // 0000000044AC: BF0A4252
	s_cselect_b32 s20, s36, s60                                // 0000000044B0: 85143C24
	v_readlane_b32 s82, v3, 3                                  // 0000000044B4: D2890052 00010703
	s_and_b32 s82, s82, 0xffffff                               // 0000000044BC: 8652FF52 00FFFFFF
	s_cmp_lt_u32 s82, s66                                      // 0000000044C4: BF0A4252
	s_cselect_b32 s21, s36, s60                                // 0000000044C8: 85153C24
	s_mov_b64 exec, s[20:21]                                   // 0000000044CC: BEFE0114
	global_atomic_add_f32 v6, v47, s[8:9] offset:8             // 0000000044D0: DD348008 00082F06
	global_atomic_add_f32 v6, v51, s[8:9] offset:264           // 0000000044D8: DD348108 00083306
	s_mov_b64 exec, s[36:37]                                   // 0000000044E0: BEFE0124
	v_mov_b32_e32 v6, v38                                      // 0000000044E4: 7E0C0326
	s_mov_b64 s[60:61], 0                                      // 0000000044E8: BEBC0180
	v_readlane_b32 s82, v3, 4                                  // 0000000044EC: D2890052 00010903
	s_and_b32 s82, s82, 0xffffff                               // 0000000044F4: 8652FF52 00FFFFFF
	s_cmp_lt_u32 s82, s66                                      // 0000000044FC: BF0A4252
	s_cselect_b32 s20, s36, s60                                // 000000004500: 85143C24
	v_readlane_b32 s82, v3, 5                                  // 000000004504: D2890052 00010B03
	s_and_b32 s82, s82, 0xffffff                               // 00000000450C: 8652FF52 00FFFFFF
	s_cmp_lt_u32 s82, s66                                      // 000000004514: BF0A4252
	s_cselect_b32 s21, s36, s60                                // 000000004518: 85153C24
	s_mov_b64 exec, s[20:21]                                   // 00000000451C: BEFE0114
	global_atomic_add_f32 v6, v54, s[8:9] offset:8             // 000000004520: DD348008 00083606
	global_atomic_add_f32 v6, v58, s[8:9] offset:264           // 000000004528: DD348108 00083A06
	s_mov_b64 exec, s[36:37]                                   // 000000004530: BEFE0124
	v_mov_b32_e32 v6, v39                                      // 000000004534: 7E0C0327
	s_mov_b64 s[60:61], 0                                      // 000000004538: BEBC0180
	v_readlane_b32 s82, v3, 6                                  // 00000000453C: D2890052 00010D03
	s_and_b32 s82, s82, 0xffffff                               // 000000004544: 8652FF52 00FFFFFF
	s_cmp_lt_u32 s82, s66                                      // 00000000454C: BF0A4252
	s_cselect_b32 s20, s36, s60                                // 000000004550: 85143C24
	v_readlane_b32 s82, v3, 7                                  // 000000004554: D2890052 00010F03
	s_and_b32 s82, s82, 0xffffff                               // 00000000455C: 8652FF52 00FFFFFF
	s_cmp_lt_u32 s82, s66                                      // 000000004564: BF0A4252
	s_cselect_b32 s21, s36, s60                                // 000000004568: 85153C24
	s_mov_b64 exec, s[20:21]                                   // 00000000456C: BEFE0114
	global_atomic_add_f32 v6, v55, s[8:9] offset:8             // 000000004570: DD348008 00083706
	global_atomic_add_f32 v6, v59, s[8:9] offset:264           // 000000004578: DD348108 00083B06
	s_mov_b64 exec, s[36:37]                                   // 000000004580: BEFE0124
	ds_write_b64 v20, v[60:61]                                 // 000000004584: D89A0000 00003C14
	ds_write_b64 v20, v[64:65] offset:4352                     // 00000000458C: D89A1100 00004014
	ds_write_b64 v20, v[68:69] offset:2176                     // 000000004594: D89A0880 00004414
	ds_write_b64 v20, v[72:73] offset:6528                     // 00000000459C: D89A1980 00004814
	s_waitcnt lgkmcnt(0)                                       // 0000000045A4: BF8CC07F
	s_barrier                                                  // 0000000045A8: BF8A0000
	ds_read_b32 v60, v21                                       // 0000000045AC: D86C0000 3C000015
	ds_read_b32 v61, v21 offset:64                             // 0000000045B4: D86C0040 3D000015
	ds_read_b32 v64, v21 offset:2176                           // 0000000045BC: D86C0880 40000015
	ds_read_b32 v65, v21 offset:2240                           // 0000000045C4: D86C08C0 41000015
	ds_read_b32 v68, v21 offset:4352                           // 0000000045CC: D86C1100 44000015
	ds_read_b32 v69, v21 offset:4416                           // 0000000045D4: D86C1140 45000015
	ds_read_b32 v72, v21 offset:6528                           // 0000000045DC: D86C1980 48000015
	ds_read_b32 v73, v21 offset:6592                           // 0000000045E4: D86C19C0 49000015
	s_mul_i32 s60, s65, 4                                      // 0000000045EC: 923C8441
	s_add_u32 s8, s60, s8                                      // 0000000045F0: 8008083C
	s_addc_u32 s9, 0, s9                                       // 0000000045F4: 82090980
	s_waitcnt lgkmcnt(0)                                       // 0000000045F8: BF8CC07F
	v_mov_b32_e32 v7, 0                                        // 0000000045FC: 7E0E0280
	s_mov_b64 exec, s[36:37]                                   // 000000004600: BEFE0124
	v_mov_b32_e32 v6, v36                                      // 000000004604: 7E0C0324
	s_mov_b64 s[60:61], 0                                      // 000000004608: BEBC0180
	v_readlane_b32 s82, v3, 0                                  // 00000000460C: D2890052 00010103
	s_and_b32 s82, s82, 0xffffff                               // 000000004614: 8652FF52 00FFFFFF
	s_cmp_lt_u32 s82, s66                                      // 00000000461C: BF0A4252
	s_cselect_b32 s20, s36, s60                                // 000000004620: 85143C24
	v_readlane_b32 s82, v3, 1                                  // 000000004624: D2890052 00010303
	s_and_b32 s82, s82, 0xffffff                               // 00000000462C: 8652FF52 00FFFFFF
	s_cmp_lt_u32 s82, s66                                      // 000000004634: BF0A4252
	s_cselect_b32 s21, s36, s60                                // 000000004638: 85153C24
	s_mov_b64 exec, s[20:21]                                   // 00000000463C: BEFE0114
	global_atomic_add_f32 v6, v60, s[8:9]                      // 000000004640: DD348000 00083C06
	global_atomic_add_f32 v6, v64, s[8:9] offset:256           // 000000004648: DD348100 00084006
	s_mov_b64 exec, s[36:37]                                   // 000000004650: BEFE0124
	v_mov_b32_e32 v6, v37                                      // 000000004654: 7E0C0325
	s_mov_b64 s[60:61], 0                                      // 000000004658: BEBC0180
	v_readlane_b32 s82, v3, 2                                  // 00000000465C: D2890052 00010503
	s_and_b32 s82, s82, 0xffffff                               // 000000004664: 8652FF52 00FFFFFF
	s_cmp_lt_u32 s82, s66                                      // 00000000466C: BF0A4252
	s_cselect_b32 s20, s36, s60                                // 000000004670: 85143C24
	v_readlane_b32 s82, v3, 3                                  // 000000004674: D2890052 00010703
	s_and_b32 s82, s82, 0xffffff                               // 00000000467C: 8652FF52 00FFFFFF
	s_cmp_lt_u32 s82, s66                                      // 000000004684: BF0A4252
	s_cselect_b32 s21, s36, s60                                // 000000004688: 85153C24
	s_mov_b64 exec, s[20:21]                                   // 00000000468C: BEFE0114
	global_atomic_add_f32 v6, v61, s[8:9]                      // 000000004690: DD348000 00083D06
	global_atomic_add_f32 v6, v65, s[8:9] offset:256           // 000000004698: DD348100 00084106
	s_mov_b64 exec, s[36:37]                                   // 0000000046A0: BEFE0124
	v_mov_b32_e32 v6, v38                                      // 0000000046A4: 7E0C0326
	s_mov_b64 s[60:61], 0                                      // 0000000046A8: BEBC0180
	v_readlane_b32 s82, v3, 4                                  // 0000000046AC: D2890052 00010903
	s_and_b32 s82, s82, 0xffffff                               // 0000000046B4: 8652FF52 00FFFFFF
	s_cmp_lt_u32 s82, s66                                      // 0000000046BC: BF0A4252
	s_cselect_b32 s20, s36, s60                                // 0000000046C0: 85143C24
	v_readlane_b32 s82, v3, 5                                  // 0000000046C4: D2890052 00010B03
	s_and_b32 s82, s82, 0xffffff                               // 0000000046CC: 8652FF52 00FFFFFF
	s_cmp_lt_u32 s82, s66                                      // 0000000046D4: BF0A4252
	s_cselect_b32 s21, s36, s60                                // 0000000046D8: 85153C24
	s_mov_b64 exec, s[20:21]                                   // 0000000046DC: BEFE0114
	global_atomic_add_f32 v6, v68, s[8:9]                      // 0000000046E0: DD348000 00084406
	global_atomic_add_f32 v6, v72, s[8:9] offset:256           // 0000000046E8: DD348100 00084806
	s_mov_b64 exec, s[36:37]                                   // 0000000046F0: BEFE0124
	v_mov_b32_e32 v6, v39                                      // 0000000046F4: 7E0C0327
	s_mov_b64 s[60:61], 0                                      // 0000000046F8: BEBC0180
	v_readlane_b32 s82, v3, 6                                  // 0000000046FC: D2890052 00010D03
	s_and_b32 s82, s82, 0xffffff                               // 000000004704: 8652FF52 00FFFFFF
	s_cmp_lt_u32 s82, s66                                      // 00000000470C: BF0A4252
	s_cselect_b32 s20, s36, s60                                // 000000004710: 85143C24
	v_readlane_b32 s82, v3, 7                                  // 000000004714: D2890052 00010F03
	s_and_b32 s82, s82, 0xffffff                               // 00000000471C: 8652FF52 00FFFFFF
	s_cmp_lt_u32 s82, s66                                      // 000000004724: BF0A4252
	s_cselect_b32 s21, s36, s60                                // 000000004728: 85153C24
	s_mov_b64 exec, s[20:21]                                   // 00000000472C: BEFE0114
	global_atomic_add_f32 v6, v69, s[8:9]                      // 000000004730: DD348000 00084506
	global_atomic_add_f32 v6, v73, s[8:9] offset:256           // 000000004738: DD348100 00084906
	s_mov_b64 exec, s[36:37]                                   // 000000004740: BEFE0124
	ds_write_b64 v20, v[62:63]                                 // 000000004744: D89A0000 00003E14
	ds_write_b64 v20, v[66:67] offset:4352                     // 00000000474C: D89A1100 00004214
	ds_write_b64 v20, v[70:71] offset:2176                     // 000000004754: D89A0880 00004614
	ds_write_b64 v20, v[74:75] offset:6528                     // 00000000475C: D89A1980 00004A14
	s_waitcnt lgkmcnt(0)                                       // 000000004764: BF8CC07F
	s_barrier                                                  // 000000004768: BF8A0000
	ds_read_b32 v62, v21                                       // 00000000476C: D86C0000 3E000015
	ds_read_b32 v63, v21 offset:64                             // 000000004774: D86C0040 3F000015
	ds_read_b32 v66, v21 offset:2176                           // 00000000477C: D86C0880 42000015
	ds_read_b32 v67, v21 offset:2240                           // 000000004784: D86C08C0 43000015
	ds_read_b32 v70, v21 offset:4352                           // 00000000478C: D86C1100 46000015
	ds_read_b32 v71, v21 offset:4416                           // 000000004794: D86C1140 47000015
	ds_read_b32 v74, v21 offset:6528                           // 00000000479C: D86C1980 4A000015
	ds_read_b32 v75, v21 offset:6592                           // 0000000047A4: D86C19C0 4B000015
	s_waitcnt lgkmcnt(0)                                       // 0000000047AC: BF8CC07F
	v_mov_b32_e32 v7, 0                                        // 0000000047B0: 7E0E0280
	s_mov_b64 exec, s[36:37]                                   // 0000000047B4: BEFE0124
	v_mov_b32_e32 v6, v36                                      // 0000000047B8: 7E0C0324
	s_mov_b64 s[60:61], 0                                      // 0000000047BC: BEBC0180
	v_readlane_b32 s82, v3, 0                                  // 0000000047C0: D2890052 00010103
	s_and_b32 s82, s82, 0xffffff                               // 0000000047C8: 8652FF52 00FFFFFF
	s_cmp_lt_u32 s82, s66                                      // 0000000047D0: BF0A4252
	s_cselect_b32 s20, s36, s60                                // 0000000047D4: 85143C24
	v_readlane_b32 s82, v3, 1                                  // 0000000047D8: D2890052 00010303
	s_and_b32 s82, s82, 0xffffff                               // 0000000047E0: 8652FF52 00FFFFFF
	s_cmp_lt_u32 s82, s66                                      // 0000000047E8: BF0A4252
	s_cselect_b32 s21, s36, s60                                // 0000000047EC: 85153C24
	s_mov_b64 exec, s[20:21]                                   // 0000000047F0: BEFE0114
	global_atomic_add_f32 v6, v62, s[8:9] offset:8             // 0000000047F4: DD348008 00083E06
	global_atomic_add_f32 v6, v66, s[8:9] offset:264           // 0000000047FC: DD348108 00084206
	s_mov_b64 exec, s[36:37]                                   // 000000004804: BEFE0124
	v_mov_b32_e32 v6, v37                                      // 000000004808: 7E0C0325
	s_mov_b64 s[60:61], 0                                      // 00000000480C: BEBC0180
	v_readlane_b32 s82, v3, 2                                  // 000000004810: D2890052 00010503
	s_and_b32 s82, s82, 0xffffff                               // 000000004818: 8652FF52 00FFFFFF
	s_cmp_lt_u32 s82, s66                                      // 000000004820: BF0A4252
	s_cselect_b32 s20, s36, s60                                // 000000004824: 85143C24
	v_readlane_b32 s82, v3, 3                                  // 000000004828: D2890052 00010703
	s_and_b32 s82, s82, 0xffffff                               // 000000004830: 8652FF52 00FFFFFF
	s_cmp_lt_u32 s82, s66                                      // 000000004838: BF0A4252
	s_cselect_b32 s21, s36, s60                                // 00000000483C: 85153C24
	s_mov_b64 exec, s[20:21]                                   // 000000004840: BEFE0114
	global_atomic_add_f32 v6, v63, s[8:9] offset:8             // 000000004844: DD348008 00083F06
	global_atomic_add_f32 v6, v67, s[8:9] offset:264           // 00000000484C: DD348108 00084306
	s_mov_b64 exec, s[36:37]                                   // 000000004854: BEFE0124
	v_mov_b32_e32 v6, v38                                      // 000000004858: 7E0C0326
	s_mov_b64 s[60:61], 0                                      // 00000000485C: BEBC0180
	v_readlane_b32 s82, v3, 4                                  // 000000004860: D2890052 00010903
	s_and_b32 s82, s82, 0xffffff                               // 000000004868: 8652FF52 00FFFFFF
	s_cmp_lt_u32 s82, s66                                      // 000000004870: BF0A4252
	s_cselect_b32 s20, s36, s60                                // 000000004874: 85143C24
	v_readlane_b32 s82, v3, 5                                  // 000000004878: D2890052 00010B03
	s_and_b32 s82, s82, 0xffffff                               // 000000004880: 8652FF52 00FFFFFF
	s_cmp_lt_u32 s82, s66                                      // 000000004888: BF0A4252
	s_cselect_b32 s21, s36, s60                                // 00000000488C: 85153C24
	s_mov_b64 exec, s[20:21]                                   // 000000004890: BEFE0114
	global_atomic_add_f32 v6, v70, s[8:9] offset:8             // 000000004894: DD348008 00084606
	global_atomic_add_f32 v6, v74, s[8:9] offset:264           // 00000000489C: DD348108 00084A06
	s_mov_b64 exec, s[36:37]                                   // 0000000048A4: BEFE0124
	v_mov_b32_e32 v6, v39                                      // 0000000048A8: 7E0C0327
	s_mov_b64 s[60:61], 0                                      // 0000000048AC: BEBC0180
	v_readlane_b32 s82, v3, 6                                  // 0000000048B0: D2890052 00010D03
	s_and_b32 s82, s82, 0xffffff                               // 0000000048B8: 8652FF52 00FFFFFF
	s_cmp_lt_u32 s82, s66                                      // 0000000048C0: BF0A4252
	s_cselect_b32 s20, s36, s60                                // 0000000048C4: 85143C24
	v_readlane_b32 s82, v3, 7                                  // 0000000048C8: D2890052 00010F03
	s_and_b32 s82, s82, 0xffffff                               // 0000000048D0: 8652FF52 00FFFFFF
	s_cmp_lt_u32 s82, s66                                      // 0000000048D8: BF0A4252
	s_cselect_b32 s21, s36, s60                                // 0000000048DC: 85153C24
	s_mov_b64 exec, s[20:21]                                   // 0000000048E0: BEFE0114
	global_atomic_add_f32 v6, v71, s[8:9] offset:8             // 0000000048E4: DD348008 00084706
	global_atomic_add_f32 v6, v75, s[8:9] offset:264           // 0000000048EC: DD348108 00084B06
	s_mov_b64 exec, s[36:37]                                   // 0000000048F4: BEFE0124
	s_branch label_0DBC                                        // 0000000048F8: BF8205FA

00000000000048fc <label_07C2>:
	s_waitcnt vmcnt(2) lgkmcnt(0)                              // 0000000048FC: BF8C0072
	s_barrier                                                  // 000000004900: BF8A0000
	v_mfma_f32_16x16x32_fp8_fp8 v[44:47], a[32:33], a[0:1], v[44:47]// 000000004904: D3F3002C 1CB20120
	buffer_load_dwordx4 a[48:51], v40, s[84:87], 0 offen       // 00000000490C: E05C1000 80953028
	v_mfma_f32_16x16x32_fp8_fp8 v[44:47], a[34:35], a[2:3], v[44:47]// 000000004914: D3F3002C 1CB20522
	v_mfma_f32_16x16x32_fp8_fp8 v[44:47], a[36:37], a[4:5], v[44:47]// 00000000491C: D3F3002C 1CB20924
	v_mfma_f32_16x16x32_fp8_fp8 v[44:47], a[38:39], a[6:7], v[44:47]// 000000004924: D3F3002C 1CB20D26
	v_mfma_f32_16x16x32_fp8_fp8 v[48:51], a[32:33], a[8:9], v[48:51]// 00000000492C: D3F30030 1CC21120
	buffer_load_dwordx4 a[52:55], v40, s[84:87], 0 offen offset:1024// 000000004934: E05C1400 80953428
	v_mfma_f32_16x16x32_fp8_fp8 v[48:51], a[34:35], a[10:11], v[48:51]// 00000000493C: D3F30030 1CC21522
	v_mfma_f32_16x16x32_fp8_fp8 v[48:51], a[36:37], a[12:13], v[48:51]// 000000004944: D3F30030 1CC21924
	v_mfma_f32_16x16x32_fp8_fp8 v[48:51], a[38:39], a[14:15], v[48:51]// 00000000494C: D3F30030 1CC21D26
	s_waitcnt vmcnt(2)                                         // 000000004954: BF8C0F72
	v_mfma_f32_16x16x32_fp8_fp8 v[52:55], a[40:41], a[0:1], v[52:55]// 000000004958: D3F30034 1CD20128
	buffer_load_dwordx4 a[56:59], v41, s[84:87], 0 offen       // 000000004960: E05C1000 80953829
	v_mfma_f32_16x16x32_fp8_fp8 v[52:55], a[42:43], a[2:3], v[52:55]// 000000004968: D3F30034 1CD2052A
	v_mfma_f32_16x16x32_fp8_fp8 v[52:55], a[44:45], a[4:5], v[52:55]// 000000004970: D3F30034 1CD2092C
	v_mfma_f32_16x16x32_fp8_fp8 v[52:55], a[46:47], a[6:7], v[52:55]// 000000004978: D3F30034 1CD20D2E
	v_mfma_f32_16x16x32_fp8_fp8 v[56:59], a[40:41], a[8:9], v[56:59]// 000000004980: D3F30038 1CE21128
	buffer_load_dwordx4 a[60:63], v41, s[84:87], 0 offen offset:1024// 000000004988: E05C1400 80953C29
	buffer_load_dword v36, s[20:23], 0 offen lds               // 000000004990: E0511000 80050024
	s_add_u32 m0, 0x100, s48                                   // 000000004998: 807C30FF 00000100
	v_mfma_f32_16x16x32_fp8_fp8 v[56:59], a[42:43], a[10:11], v[56:59]// 0000000049A0: D3F30038 1CE2152A
	s_add_u32 s60, 0x80, s80                                   // 0000000049A8: 803C50FF 00000080
	s_cmp_lt_u32 s60, s81                                      // 0000000049B0: BF0A513C
	s_cselect_b32 s83, s83, 0                                  // 0000000049B4: 85538053
	v_mfma_f32_16x16x32_fp8_fp8 v[56:59], a[44:45], a[12:13], v[56:59]// 0000000049B8: D3F30038 1CE2192C
	buffer_load_dword v37, s[20:23], 0 offen lds               // 0000000049C0: E0511000 80050025
	s_add_u32 m0, 0x200, s48                                   // 0000000049C8: 807C30FF 00000200
	v_mfma_f32_16x16x32_fp8_fp8 v[56:59], a[46:47], a[14:15], v[56:59]// 0000000049D0: D3F30038 1CE21D2E
	buffer_load_dword v38, s[20:23], 0 offen lds               // 0000000049D8: E0511000 80050026
	s_add_u32 m0, 0x300, s48                                   // 0000000049E0: 807C30FF 00000300
	buffer_load_dword v39, s[20:23], 0 offen lds               // 0000000049E8: E0511000 80050027
	s_add_u32 m0, 0, s49                                       // 0000000049F0: 807C3180
	s_waitcnt vmcnt(4)                                         // 0000000049F4: BF8C0F74
	v_mfma_f32_16x16x32_fp8_fp8 v[60:63], a[48:49], a[0:1], v[60:63]// 0000000049F8: D3F3003C 1CF20130
	buffer_load_dwordx4 a[32:35], v40, s[24:27], 0 offen       // 000000004A00: E05C1000 80862028
	v_mfma_f32_16x16x32_fp8_fp8 v[60:63], a[50:51], a[2:3], v[60:63]// 000000004A08: D3F3003C 1CF20532
	v_mfma_f32_16x16x32_fp8_fp8 v[60:63], a[52:53], a[4:5], v[60:63]// 000000004A10: D3F3003C 1CF20934
	ds_read_b128 a[16:19], v2 offset:4224                      // 000000004A18: DBFE1080 10000002
	ds_read_b128 a[20:23], v2 offset:4288                      // 000000004A20: DBFE10C0 14000002
	v_mfma_f32_16x16x32_fp8_fp8 v[60:63], a[54:55], a[6:7], v[60:63]// 000000004A28: D3F3003C 1CF20D36
	v_mfma_f32_16x16x32_fp8_fp8 v[68:71], a[56:57], a[0:1], v[68:71]// 000000004A30: D3F30044 1D120138
	buffer_load_dwordx4 a[36:39], v40, s[24:27], 0 offen offset:1024// 000000004A38: E05C1400 80862428
	v_mfma_f32_16x16x32_fp8_fp8 v[68:71], a[58:59], a[2:3], v[68:71]// 000000004A40: D3F30044 1D12053A
	v_mfma_f32_16x16x32_fp8_fp8 v[68:71], a[60:61], a[4:5], v[68:71]// 000000004A48: D3F30044 1D12093C
	ds_read_b128 a[24:27], v2 offset:4736                      // 000000004A50: DBFE1280 18000002
	ds_read_b128 a[28:31], v2 offset:4800                      // 000000004A58: DBFE12C0 1C000002
	v_mfma_f32_16x16x32_fp8_fp8 v[68:71], a[62:63], a[6:7], v[68:71]// 000000004A60: D3F30044 1D120D3E
	v_mfma_f32_16x16x32_fp8_fp8 v[64:67], a[48:49], a[8:9], v[64:67]// 000000004A68: D3F30040 1D021130
	buffer_load_dwordx4 a[40:43], v41, s[24:27], 0 offen       // 000000004A70: E05C1000 80862829
	v_mfma_f32_16x16x32_fp8_fp8 v[64:67], a[50:51], a[10:11], v[64:67]// 000000004A78: D3F30040 1D021532
	v_mfma_f32_16x16x32_fp8_fp8 v[64:67], a[52:53], a[12:13], v[64:67]// 000000004A80: D3F30040 1D021934
	s_add_u32 s60, 0x180, s80                                  // 000000004A88: 803C50FF 00000180
	s_cmp_lt_u32 s60, s81                                      // 000000004A90: BF0A513C
	s_cselect_b32 s57, s57, 0                                  // 000000004A94: 85398039
	v_mfma_f32_16x16x32_fp8_fp8 v[64:67], a[54:55], a[14:15], v[64:67]// 000000004A98: D3F30040 1D021D36
	s_add_u32 s60, 0x100, s80                                  // 000000004AA0: 803C50FF 00000100
	s_cmp_lt_u32 s60, s81                                      // 000000004AA8: BF0A513C
	s_cselect_b32 s58, s58, 0                                  // 000000004AAC: 853A803A
	v_mfma_f32_16x16x32_fp8_fp8 v[72:75], a[56:57], a[8:9], v[72:75]// 000000004AB0: D3F30048 1D221138
	buffer_load_dwordx4 a[44:47], v41, s[24:27], 0 offen offset:1024// 000000004AB8: E05C1400 80862C29
	s_add_u32 s24, s58, s24                                    // 000000004AC0: 8018183A
	s_addc_u32 s25, 0, s25                                     // 000000004AC4: 82191980
	v_mfma_f32_16x16x32_fp8_fp8 v[72:75], a[58:59], a[10:11], v[72:75]// 000000004AC8: D3F30048 1D22153A
	s_add_u32 s20, s57, s20                                    // 000000004AD0: 80141439
	s_addc_u32 s21, 0, s21                                     // 000000004AD4: 82151580
	v_mfma_f32_16x16x32_fp8_fp8 v[72:75], a[60:61], a[12:13], v[72:75]// 000000004AD8: D3F30048 1D22193C
	s_add_u32 s84, s83, s84                                    // 000000004AE0: 80545453
	s_addc_u32 s85, 0, s85                                     // 000000004AE4: 82555580
	v_mfma_f32_16x16x32_fp8_fp8 v[72:75], a[62:63], a[14:15], v[72:75]// 000000004AE8: D3F30048 1D221D3E
	s_addk_i32 s80, 0x80                                       // 000000004AF0: B7500080
	s_cmp_lt_i32 s80, s81                                      // 000000004AF4: BF045150
	s_cbranch_scc0 label_08C3                                  // 000000004AF8: BF840081
	s_waitcnt vmcnt(2) lgkmcnt(0)                              // 000000004AFC: BF8C0072
	s_barrier                                                  // 000000004B00: BF8A0000
	v_mfma_f32_16x16x32_fp8_fp8 v[44:47], a[32:33], a[16:17], v[44:47]// 000000004B04: D3F3002C 1CB22120
	buffer_load_dwordx4 a[48:51], v40, s[84:87], 0 offen       // 000000004B0C: E05C1000 80953028
	v_mfma_f32_16x16x32_fp8_fp8 v[44:47], a[34:35], a[18:19], v[44:47]// 000000004B14: D3F3002C 1CB22522
	v_mfma_f32_16x16x32_fp8_fp8 v[44:47], a[36:37], a[20:21], v[44:47]// 000000004B1C: D3F3002C 1CB22924
	v_mfma_f32_16x16x32_fp8_fp8 v[44:47], a[38:39], a[22:23], v[44:47]// 000000004B24: D3F3002C 1CB22D26
	v_mfma_f32_16x16x32_fp8_fp8 v[48:51], a[32:33], a[24:25], v[48:51]// 000000004B2C: D3F30030 1CC23120
	buffer_load_dwordx4 a[52:55], v40, s[84:87], 0 offen offset:1024// 000000004B34: E05C1400 80953428
	v_mfma_f32_16x16x32_fp8_fp8 v[48:51], a[34:35], a[26:27], v[48:51]// 000000004B3C: D3F30030 1CC23522
	v_mfma_f32_16x16x32_fp8_fp8 v[48:51], a[36:37], a[28:29], v[48:51]// 000000004B44: D3F30030 1CC23924
	v_mfma_f32_16x16x32_fp8_fp8 v[48:51], a[38:39], a[30:31], v[48:51]// 000000004B4C: D3F30030 1CC23D26
	s_waitcnt vmcnt(2)                                         // 000000004B54: BF8C0F72
	v_mfma_f32_16x16x32_fp8_fp8 v[52:55], a[40:41], a[16:17], v[52:55]// 000000004B58: D3F30034 1CD22128
	buffer_load_dwordx4 a[56:59], v41, s[84:87], 0 offen       // 000000004B60: E05C1000 80953829
	v_mfma_f32_16x16x32_fp8_fp8 v[52:55], a[42:43], a[18:19], v[52:55]// 000000004B68: D3F30034 1CD2252A
	v_mfma_f32_16x16x32_fp8_fp8 v[52:55], a[44:45], a[20:21], v[52:55]// 000000004B70: D3F30034 1CD2292C
	v_mfma_f32_16x16x32_fp8_fp8 v[52:55], a[46:47], a[22:23], v[52:55]// 000000004B78: D3F30034 1CD22D2E
	v_mfma_f32_16x16x32_fp8_fp8 v[56:59], a[40:41], a[24:25], v[56:59]// 000000004B80: D3F30038 1CE23128
	buffer_load_dwordx4 a[60:63], v41, s[84:87], 0 offen offset:1024// 000000004B88: E05C1400 80953C29
	buffer_load_dword v36, s[20:23], 0 offen lds               // 000000004B90: E0511000 80050024
	s_add_u32 m0, 0x100, s49                                   // 000000004B98: 807C31FF 00000100
	v_mfma_f32_16x16x32_fp8_fp8 v[56:59], a[42:43], a[26:27], v[56:59]// 000000004BA0: D3F30038 1CE2352A
	s_add_u32 s60, 0x80, s80                                   // 000000004BA8: 803C50FF 00000080
	s_cmp_lt_u32 s60, s81                                      // 000000004BB0: BF0A513C
	s_cselect_b32 s83, s83, 0                                  // 000000004BB4: 85538053
	v_mfma_f32_16x16x32_fp8_fp8 v[56:59], a[44:45], a[28:29], v[56:59]// 000000004BB8: D3F30038 1CE2392C
	buffer_load_dword v37, s[20:23], 0 offen lds               // 000000004BC0: E0511000 80050025
	s_add_u32 m0, 0x200, s49                                   // 000000004BC8: 807C31FF 00000200
	v_mfma_f32_16x16x32_fp8_fp8 v[56:59], a[46:47], a[30:31], v[56:59]// 000000004BD0: D3F30038 1CE23D2E
	buffer_load_dword v38, s[20:23], 0 offen lds               // 000000004BD8: E0511000 80050026
	s_add_u32 m0, 0x300, s49                                   // 000000004BE0: 807C31FF 00000300
	buffer_load_dword v39, s[20:23], 0 offen lds               // 000000004BE8: E0511000 80050027
	s_add_u32 m0, 0, s48                                       // 000000004BF0: 807C3080
	s_waitcnt vmcnt(4)                                         // 000000004BF4: BF8C0F74
	v_mfma_f32_16x16x32_fp8_fp8 v[60:63], a[48:49], a[16:17], v[60:63]// 000000004BF8: D3F3003C 1CF22130
	buffer_load_dwordx4 a[32:35], v40, s[24:27], 0 offen       // 000000004C00: E05C1000 80862028
	v_mfma_f32_16x16x32_fp8_fp8 v[60:63], a[50:51], a[18:19], v[60:63]// 000000004C08: D3F3003C 1CF22532
	v_mfma_f32_16x16x32_fp8_fp8 v[60:63], a[52:53], a[20:21], v[60:63]// 000000004C10: D3F3003C 1CF22934
	ds_read_b128 a[0:3], v2                                    // 000000004C18: DBFE0000 00000002
	ds_read_b128 a[4:7], v2 offset:64                          // 000000004C20: DBFE0040 04000002
	v_mfma_f32_16x16x32_fp8_fp8 v[60:63], a[54:55], a[22:23], v[60:63]// 000000004C28: D3F3003C 1CF22D36
	v_mfma_f32_16x16x32_fp8_fp8 v[68:71], a[56:57], a[16:17], v[68:71]// 000000004C30: D3F30044 1D122138
	buffer_load_dwordx4 a[36:39], v40, s[24:27], 0 offen offset:1024// 000000004C38: E05C1400 80862428
	v_mfma_f32_16x16x32_fp8_fp8 v[68:71], a[58:59], a[18:19], v[68:71]// 000000004C40: D3F30044 1D12253A
	v_mfma_f32_16x16x32_fp8_fp8 v[68:71], a[60:61], a[20:21], v[68:71]// 000000004C48: D3F30044 1D12293C
	ds_read_b128 a[8:11], v2 offset:512                        // 000000004C50: DBFE0200 08000002
	ds_read_b128 a[12:15], v2 offset:576                       // 000000004C58: DBFE0240 0C000002
	v_mfma_f32_16x16x32_fp8_fp8 v[68:71], a[62:63], a[22:23], v[68:71]// 000000004C60: D3F30044 1D122D3E
	v_mfma_f32_16x16x32_fp8_fp8 v[64:67], a[48:49], a[24:25], v[64:67]// 000000004C68: D3F30040 1D023130
	buffer_load_dwordx4 a[40:43], v41, s[24:27], 0 offen       // 000000004C70: E05C1000 80862829
	v_mfma_f32_16x16x32_fp8_fp8 v[64:67], a[50:51], a[26:27], v[64:67]// 000000004C78: D3F30040 1D023532
	v_mfma_f32_16x16x32_fp8_fp8 v[64:67], a[52:53], a[28:29], v[64:67]// 000000004C80: D3F30040 1D023934
	s_add_u32 s60, 0x180, s80                                  // 000000004C88: 803C50FF 00000180
	s_cmp_lt_u32 s60, s81                                      // 000000004C90: BF0A513C
	s_cselect_b32 s57, s57, 0                                  // 000000004C94: 85398039
	v_mfma_f32_16x16x32_fp8_fp8 v[64:67], a[54:55], a[30:31], v[64:67]// 000000004C98: D3F30040 1D023D36
	s_add_u32 s60, 0x100, s80                                  // 000000004CA0: 803C50FF 00000100
	s_cmp_lt_u32 s60, s81                                      // 000000004CA8: BF0A513C
	s_cselect_b32 s58, s58, 0                                  // 000000004CAC: 853A803A
	v_mfma_f32_16x16x32_fp8_fp8 v[72:75], a[56:57], a[24:25], v[72:75]// 000000004CB0: D3F30048 1D223138
	buffer_load_dwordx4 a[44:47], v41, s[24:27], 0 offen offset:1024// 000000004CB8: E05C1400 80862C29
	s_add_u32 s24, s58, s24                                    // 000000004CC0: 8018183A
	s_addc_u32 s25, 0, s25                                     // 000000004CC4: 82191980
	v_mfma_f32_16x16x32_fp8_fp8 v[72:75], a[58:59], a[26:27], v[72:75]// 000000004CC8: D3F30048 1D22353A
	s_add_u32 s20, s57, s20                                    // 000000004CD0: 80141439
	s_addc_u32 s21, 0, s21                                     // 000000004CD4: 82151580
	v_mfma_f32_16x16x32_fp8_fp8 v[72:75], a[60:61], a[28:29], v[72:75]// 000000004CD8: D3F30048 1D22393C
	s_add_u32 s84, s83, s84                                    // 000000004CE0: 80545453
	s_addc_u32 s85, 0, s85                                     // 000000004CE4: 82555580
	v_mfma_f32_16x16x32_fp8_fp8 v[72:75], a[62:63], a[30:31], v[72:75]// 000000004CE8: D3F30048 1D223D3E
	s_addk_i32 s80, 0x80                                       // 000000004CF0: B7500080
	s_cmp_lt_i32 s80, s81                                      // 000000004CF4: BF045150
	s_cbranch_scc0 label_08C3                                  // 000000004CF8: BF840001
	s_branch label_07C2                                        // 000000004CFC: BF82FEFF

0000000000004d00 <label_08C3>:
	v_mul_f32_dpp v44, v24, v44 row_newbcast:0 row_mask:0xf bank_mask:0xf// 000000004D00: 0A5858FA FF015018
	v_mul_f32_dpp v45, v24, v45 row_newbcast:1 row_mask:0xf bank_mask:0xf// 000000004D08: 0A5A5AFA FF015118
	v_mul_f32_dpp v46, v24, v46 row_newbcast:2 row_mask:0xf bank_mask:0xf// 000000004D10: 0A5C5CFA FF015218
	v_mul_f32_dpp v47, v24, v47 row_newbcast:3 row_mask:0xf bank_mask:0xf// 000000004D18: 0A5E5EFA FF015318
	v_mul_f32_dpp v48, v24, v48 row_newbcast:0 row_mask:0xf bank_mask:0xf// 000000004D20: 0A6060FA FF015018
	v_mul_f32_dpp v49, v24, v49 row_newbcast:1 row_mask:0xf bank_mask:0xf// 000000004D28: 0A6262FA FF015118
	v_mul_f32_dpp v50, v24, v50 row_newbcast:2 row_mask:0xf bank_mask:0xf// 000000004D30: 0A6464FA FF015218
	v_mul_f32_dpp v51, v24, v51 row_newbcast:3 row_mask:0xf bank_mask:0xf// 000000004D38: 0A6666FA FF015318
	v_mul_f32_dpp v52, v24, v52 row_newbcast:4 row_mask:0xf bank_mask:0xf// 000000004D40: 0A6868FA FF015418
	v_mul_f32_dpp v53, v24, v53 row_newbcast:5 row_mask:0xf bank_mask:0xf// 000000004D48: 0A6A6AFA FF015518
	v_mul_f32_dpp v54, v24, v54 row_newbcast:6 row_mask:0xf bank_mask:0xf// 000000004D50: 0A6C6CFA FF015618
	v_mul_f32_dpp v55, v24, v55 row_newbcast:7 row_mask:0xf bank_mask:0xf// 000000004D58: 0A6E6EFA FF015718
	v_mul_f32_dpp v56, v24, v56 row_newbcast:4 row_mask:0xf bank_mask:0xf// 000000004D60: 0A7070FA FF015418
	v_mul_f32_dpp v57, v24, v57 row_newbcast:5 row_mask:0xf bank_mask:0xf// 000000004D68: 0A7272FA FF015518
	v_mul_f32_dpp v58, v24, v58 row_newbcast:6 row_mask:0xf bank_mask:0xf// 000000004D70: 0A7474FA FF015618
	v_mul_f32_dpp v59, v24, v59 row_newbcast:7 row_mask:0xf bank_mask:0xf// 000000004D78: 0A7676FA FF015718
	v_mul_f32_dpp v60, v26, v60 row_newbcast:0 row_mask:0xf bank_mask:0xf// 000000004D80: 0A7878FA FF01501A
	v_mul_f32_dpp v61, v26, v61 row_newbcast:1 row_mask:0xf bank_mask:0xf// 000000004D88: 0A7A7AFA FF01511A
	v_mul_f32_dpp v62, v26, v62 row_newbcast:2 row_mask:0xf bank_mask:0xf// 000000004D90: 0A7C7CFA FF01521A
	v_mul_f32_dpp v63, v26, v63 row_newbcast:3 row_mask:0xf bank_mask:0xf// 000000004D98: 0A7E7EFA FF01531A
	v_mul_f32_dpp v64, v26, v64 row_newbcast:0 row_mask:0xf bank_mask:0xf// 000000004DA0: 0A8080FA FF01501A
	v_mul_f32_dpp v65, v26, v65 row_newbcast:1 row_mask:0xf bank_mask:0xf// 000000004DA8: 0A8282FA FF01511A
	v_mul_f32_dpp v66, v26, v66 row_newbcast:2 row_mask:0xf bank_mask:0xf// 000000004DB0: 0A8484FA FF01521A
	v_mul_f32_dpp v67, v26, v67 row_newbcast:3 row_mask:0xf bank_mask:0xf// 000000004DB8: 0A8686FA FF01531A
	v_mul_f32_dpp v68, v26, v68 row_newbcast:4 row_mask:0xf bank_mask:0xf// 000000004DC0: 0A8888FA FF01541A
	v_mul_f32_dpp v69, v26, v69 row_newbcast:5 row_mask:0xf bank_mask:0xf// 000000004DC8: 0A8A8AFA FF01551A
	v_mul_f32_dpp v70, v26, v70 row_newbcast:6 row_mask:0xf bank_mask:0xf// 000000004DD0: 0A8C8CFA FF01561A
	v_mul_f32_dpp v71, v26, v71 row_newbcast:7 row_mask:0xf bank_mask:0xf// 000000004DD8: 0A8E8EFA FF01571A
	v_mul_f32_dpp v72, v26, v72 row_newbcast:4 row_mask:0xf bank_mask:0xf// 000000004DE0: 0A9090FA FF01541A
	v_mul_f32_dpp v73, v26, v73 row_newbcast:5 row_mask:0xf bank_mask:0xf// 000000004DE8: 0A9292FA FF01551A
	v_mul_f32_dpp v74, v26, v74 row_newbcast:6 row_mask:0xf bank_mask:0xf// 000000004DF0: 0A9494FA FF01561A
	v_mul_f32_dpp v75, v26, v75 row_newbcast:7 row_mask:0xf bank_mask:0xf// 000000004DF8: 0A9696FA FF01571A
	v_mov_b32_e32 v4, v30                                      // 000000004E00: 7E08031E
	v_mov_b32_e32 v5, v4                                       // 000000004E04: 7E0A0304
	v_pk_mul_f32 v[44:45], v[4:5], v[44:45]                    // 000000004E08: D3B1402C 18025904
	v_pk_mul_f32 v[60:61], v[4:5], v[60:61]                    // 000000004E10: D3B1403C 18027904
	v_pk_mul_f32 v[46:47], v[4:5], v[46:47]                    // 000000004E18: D3B1402E 18025D04
	v_pk_mul_f32 v[62:63], v[4:5], v[62:63]                    // 000000004E20: D3B1403E 18027D04
	v_pk_mul_f32 v[52:53], v[4:5], v[52:53]                    // 000000004E28: D3B14034 18026904
	v_pk_mul_f32 v[68:69], v[4:5], v[68:69]                    // 000000004E30: D3B14044 18028904
	v_pk_mul_f32 v[54:55], v[4:5], v[54:55]                    // 000000004E38: D3B14036 18026D04
	v_pk_mul_f32 v[70:71], v[4:5], v[70:71]                    // 000000004E40: D3B14046 18028D04
	v_mov_b32_e32 v4, v31                                      // 000000004E48: 7E08031F
	v_mov_b32_e32 v5, v4                                       // 000000004E4C: 7E0A0304
	v_pk_mul_f32 v[48:49], v[4:5], v[48:49]                    // 000000004E50: D3B14030 18026104
	v_pk_mul_f32 v[64:65], v[4:5], v[64:65]                    // 000000004E58: D3B14040 18028104
	v_pk_mul_f32 v[50:51], v[4:5], v[50:51]                    // 000000004E60: D3B14032 18026504
	v_pk_mul_f32 v[66:67], v[4:5], v[66:67]                    // 000000004E68: D3B14042 18028504
	v_pk_mul_f32 v[56:57], v[4:5], v[56:57]                    // 000000004E70: D3B14038 18027104
	v_pk_mul_f32 v[72:73], v[4:5], v[72:73]                    // 000000004E78: D3B14048 18029104
	v_pk_mul_f32 v[58:59], v[4:5], v[58:59]                    // 000000004E80: D3B1403A 18027504
	v_pk_mul_f32 v[74:75], v[4:5], v[74:75]                    // 000000004E88: D3B1404A 18029504
	s_cmp_eq_u32 s88, 0                                        // 000000004E90: BF068058
	s_cbranch_scc0 label_0B9A                                  // 000000004E94: BF840271
	s_cmp_eq_u32 s89, 0                                        // 000000004E98: BF068059
	s_cbranch_scc1 label_09D0                                  // 000000004E9C: BF8500A5
	v_mov_b32_e32 v8, v1                                       // 000000004EA0: 7E100301
	v_mov_b32_e32 v9, v1                                       // 000000004EA4: 7E120301
	s_mov_b32 s60, s6                                          // 000000004EA8: BEBC0006
	s_mov_b32 s61, s6                                          // 000000004EAC: BEBD0006
	v_pk_mul_f32 v[4:5], v[44:45], v[44:45]                    // 000000004EB0: D3B14004 1802592C
	v_pk_mul_f32 v[6:7], v[46:47], v[46:47]                    // 000000004EB8: D3B14006 18025D2E
	v_pk_fma_f32 v[4:5], v[4:5], s[78:79], v[8:9]              // 000000004EC0: D3B04004 1C209D04
	v_pk_fma_f32 v[6:7], v[6:7], s[78:79], v[8:9]              // 000000004EC8: D3B04006 1C209D06
	v_pk_mul_f32 v[4:5], v[4:5], v[44:45]                      // 000000004ED0: D3B14004 18025904
	v_pk_mul_f32 v[6:7], v[6:7], v[46:47]                      // 000000004ED8: D3B14006 18025D06
	v_pk_mul_f32 v[4:5], v[4:5], s[60:61]                      // 000000004EE0: D3B14004 18007904
	v_pk_mul_f32 v[6:7], v[6:7], s[60:61]                      // 000000004EE8: D3B14006 18007906
	v_exp_f32_e32 v4, v4                                       // 000000004EF0: 7E084104
	v_exp_f32_e32 v5, v5                                       // 000000004EF4: 7E0A4105
	v_exp_f32_e32 v6, v6                                       // 000000004EF8: 7E0C4106
	v_exp_f32_e32 v7, v7                                       // 000000004EFC: 7E0E4107
	v_add_f32_e64 v4, v4, 1.0                                  // 000000004F00: D1010004 0001E504
	v_add_f32_e64 v5, v5, 1.0                                  // 000000004F08: D1010005 0001E505
	v_add_f32_e64 v6, v6, 1.0                                  // 000000004F10: D1010006 0001E506
	v_add_f32_e64 v7, v7, 1.0                                  // 000000004F18: D1010007 0001E507
	v_rcp_f32_e32 v4, v4                                       // 000000004F20: 7E084504
	v_rcp_f32_e32 v5, v5                                       // 000000004F24: 7E0A4505
	v_rcp_f32_e32 v6, v6                                       // 000000004F28: 7E0C4506
	v_rcp_f32_e32 v7, v7                                       // 000000004F2C: 7E0E4507
	v_mul_f32_e32 v44, v44, v4                                 // 000000004F30: 0A58092C
	v_mul_f32_e32 v45, v45, v5                                 // 000000004F34: 0A5A0B2D
	v_mul_f32_e32 v46, v46, v6                                 // 000000004F38: 0A5C0D2E
	v_mul_f32_e32 v47, v47, v7                                 // 000000004F3C: 0A5E0F2F
	v_mul_f32_e32 v44, v44, v60                                // 000000004F40: 0A58792C
	v_mul_f32_e32 v45, v45, v61                                // 000000004F44: 0A5A7B2D
	v_mul_f32_e32 v46, v46, v62                                // 000000004F48: 0A5C7D2E
	v_mul_f32_e32 v47, v47, v63                                // 000000004F4C: 0A5E7F2F
	v_pk_mul_f32 v[4:5], v[48:49], v[48:49]                    // 000000004F50: D3B14004 18026130
	v_pk_mul_f32 v[6:7], v[50:51], v[50:51]                    // 000000004F58: D3B14006 18026532
	v_pk_fma_f32 v[4:5], v[4:5], s[78:79], v[8:9]              // 000000004F60: D3B04004 1C209D04
	v_pk_fma_f32 v[6:7], v[6:7], s[78:79], v[8:9]              // 000000004F68: D3B04006 1C209D06
	v_pk_mul_f32 v[4:5], v[4:5], v[48:49]                      // 000000004F70: D3B14004 18026104
	v_pk_mul_f32 v[6:7], v[6:7], v[50:51]                      // 000000004F78: D3B14006 18026506
	v_pk_mul_f32 v[4:5], v[4:5], s[60:61]                      // 000000004F80: D3B14004 18007904
	v_pk_mul_f32 v[6:7], v[6:7], s[60:61]                      // 000000004F88: D3B14006 18007906
	v_exp_f32_e32 v4, v4                                       // 000000004F90: 7E084104
	v_exp_f32_e32 v5, v5                                       // 000000004F94: 7E0A4105
	v_exp_f32_e32 v6, v6                                       // 000000004F98: 7E0C4106
	v_exp_f32_e32 v7, v7                                       // 000000004F9C: 7E0E4107
	v_add_f32_e64 v4, v4, 1.0                                  // 000000004FA0: D1010004 0001E504
	v_add_f32_e64 v5, v5, 1.0                                  // 000000004FA8: D1010005 0001E505
	v_add_f32_e64 v6, v6, 1.0                                  // 000000004FB0: D1010006 0001E506
	v_add_f32_e64 v7, v7, 1.0                                  // 000000004FB8: D1010007 0001E507
	v_rcp_f32_e32 v4, v4                                       // 000000004FC0: 7E084504
	v_rcp_f32_e32 v5, v5                                       // 000000004FC4: 7E0A4505
	v_rcp_f32_e32 v6, v6                                       // 000000004FC8: 7E0C4506
	v_rcp_f32_e32 v7, v7                                       // 000000004FCC: 7E0E4507
	v_mul_f32_e32 v48, v48, v4                                 // 000000004FD0: 0A600930
	v_mul_f32_e32 v49, v49, v5                                 // 000000004FD4: 0A620B31
	v_mul_f32_e32 v50, v50, v6                                 // 000000004FD8: 0A640D32
	v_mul_f32_e32 v51, v51, v7                                 // 000000004FDC: 0A660F33
	v_mul_f32_e32 v48, v48, v64                                // 000000004FE0: 0A608130
	v_mul_f32_e32 v49, v49, v65                                // 000000004FE4: 0A628331
	v_mul_f32_e32 v50, v50, v66                                // 000000004FE8: 0A648532
	v_mul_f32_e32 v51, v51, v67                                // 000000004FEC: 0A668733
	v_pk_mul_f32 v[4:5], v[52:53], v[52:53]                    // 000000004FF0: D3B14004 18026934
	v_pk_mul_f32 v[6:7], v[54:55], v[54:55]                    // 000000004FF8: D3B14006 18026D36
	v_pk_fma_f32 v[4:5], v[4:5], s[78:79], v[8:9]              // 000000005000: D3B04004 1C209D04
	v_pk_fma_f32 v[6:7], v[6:7], s[78:79], v[8:9]              // 000000005008: D3B04006 1C209D06
	v_pk_mul_f32 v[4:5], v[4:5], v[52:53]                      // 000000005010: D3B14004 18026904
	v_pk_mul_f32 v[6:7], v[6:7], v[54:55]                      // 000000005018: D3B14006 18026D06
	v_pk_mul_f32 v[4:5], v[4:5], s[60:61]                      // 000000005020: D3B14004 18007904
	v_pk_mul_f32 v[6:7], v[6:7], s[60:61]                      // 000000005028: D3B14006 18007906
	v_exp_f32_e32 v4, v4                                       // 000000005030: 7E084104
	v_exp_f32_e32 v5, v5                                       // 000000005034: 7E0A4105
	v_exp_f32_e32 v6, v6                                       // 000000005038: 7E0C4106
	v_exp_f32_e32 v7, v7                                       // 00000000503C: 7E0E4107
	v_add_f32_e64 v4, v4, 1.0                                  // 000000005040: D1010004 0001E504
	v_add_f32_e64 v5, v5, 1.0                                  // 000000005048: D1010005 0001E505
	v_add_f32_e64 v6, v6, 1.0                                  // 000000005050: D1010006 0001E506
	v_add_f32_e64 v7, v7, 1.0                                  // 000000005058: D1010007 0001E507
	v_rcp_f32_e32 v4, v4                                       // 000000005060: 7E084504
	v_rcp_f32_e32 v5, v5                                       // 000000005064: 7E0A4505
	v_rcp_f32_e32 v6, v6                                       // 000000005068: 7E0C4506
	v_rcp_f32_e32 v7, v7                                       // 00000000506C: 7E0E4507
	v_mul_f32_e32 v52, v52, v4                                 // 000000005070: 0A680934
	v_mul_f32_e32 v53, v53, v5                                 // 000000005074: 0A6A0B35
	v_mul_f32_e32 v54, v54, v6                                 // 000000005078: 0A6C0D36
	v_mul_f32_e32 v55, v55, v7                                 // 00000000507C: 0A6E0F37
	v_mul_f32_e32 v52, v52, v68                                // 000000005080: 0A688934
	v_mul_f32_e32 v53, v53, v69                                // 000000005084: 0A6A8B35
	v_mul_f32_e32 v54, v54, v70                                // 000000005088: 0A6C8D36
	v_mul_f32_e32 v55, v55, v71                                // 00000000508C: 0A6E8F37
	v_pk_mul_f32 v[4:5], v[56:57], v[56:57]                    // 000000005090: D3B14004 18027138
	v_pk_mul_f32 v[6:7], v[58:59], v[58:59]                    // 000000005098: D3B14006 1802753A
	v_pk_fma_f32 v[4:5], v[4:5], s[78:79], v[8:9]              // 0000000050A0: D3B04004 1C209D04
	v_pk_fma_f32 v[6:7], v[6:7], s[78:79], v[8:9]              // 0000000050A8: D3B04006 1C209D06
	v_pk_mul_f32 v[4:5], v[4:5], v[56:57]                      // 0000000050B0: D3B14004 18027104
	v_pk_mul_f32 v[6:7], v[6:7], v[58:59]                      // 0000000050B8: D3B14006 18027506
	v_pk_mul_f32 v[4:5], v[4:5], s[60:61]                      // 0000000050C0: D3B14004 18007904
	v_pk_mul_f32 v[6:7], v[6:7], s[60:61]                      // 0000000050C8: D3B14006 18007906
	v_exp_f32_e32 v4, v4                                       // 0000000050D0: 7E084104
	v_exp_f32_e32 v5, v5                                       // 0000000050D4: 7E0A4105
	v_exp_f32_e32 v6, v6                                       // 0000000050D8: 7E0C4106
	v_exp_f32_e32 v7, v7                                       // 0000000050DC: 7E0E4107
	v_add_f32_e64 v4, v4, 1.0                                  // 0000000050E0: D1010004 0001E504
	v_add_f32_e64 v5, v5, 1.0                                  // 0000000050E8: D1010005 0001E505
	v_add_f32_e64 v6, v6, 1.0                                  // 0000000050F0: D1010006 0001E506
	v_add_f32_e64 v7, v7, 1.0                                  // 0000000050F8: D1010007 0001E507
	v_rcp_f32_e32 v4, v4                                       // 000000005100: 7E084504
	v_rcp_f32_e32 v5, v5                                       // 000000005104: 7E0A4505
	v_rcp_f32_e32 v6, v6                                       // 000000005108: 7E0C4506
	v_rcp_f32_e32 v7, v7                                       // 00000000510C: 7E0E4507
	v_mul_f32_e32 v56, v56, v4                                 // 000000005110: 0A700938
	v_mul_f32_e32 v57, v57, v5                                 // 000000005114: 0A720B39
	v_mul_f32_e32 v58, v58, v6                                 // 000000005118: 0A740D3A
	v_mul_f32_e32 v59, v59, v7                                 // 00000000511C: 0A760F3B
	v_mul_f32_e32 v56, v56, v72                                // 000000005120: 0A709138
	v_mul_f32_e32 v57, v57, v73                                // 000000005124: 0A729339
	v_mul_f32_e32 v58, v58, v74                                // 000000005128: 0A74953A
	v_mul_f32_e32 v59, v59, v75                                // 00000000512C: 0A76973B
	s_branch label_0A50                                        // 000000005130: BF820080

0000000000005134 <label_09D0>:
	v_mul_f32_e64 v4, -v44, s6                                 // 000000005134: D1050004 20000D2C
	v_mul_f32_e64 v5, -v45, s6                                 // 00000000513C: D1050005 20000D2D
	v_mul_f32_e64 v6, -v46, s6                                 // 000000005144: D1050006 20000D2E
	v_mul_f32_e64 v7, -v47, s6                                 // 00000000514C: D1050007 20000D2F
	v_exp_f32_e32 v4, v4                                       // 000000005154: 7E084104
	v_exp_f32_e32 v5, v5                                       // 000000005158: 7E0A4105
	v_exp_f32_e32 v6, v6                                       // 00000000515C: 7E0C4106
	v_exp_f32_e32 v7, v7                                       // 000000005160: 7E0E4107
	v_add_f32_e64 v4, v4, 1.0                                  // 000000005164: D1010004 0001E504
	v_add_f32_e64 v5, v5, 1.0                                  // 00000000516C: D1010005 0001E505
	v_add_f32_e64 v6, v6, 1.0                                  // 000000005174: D1010006 0001E506
	v_add_f32_e64 v7, v7, 1.0                                  // 00000000517C: D1010007 0001E507
	v_rcp_f32_e32 v4, v4                                       // 000000005184: 7E084504
	v_rcp_f32_e32 v5, v5                                       // 000000005188: 7E0A4505
	v_rcp_f32_e32 v6, v6                                       // 00000000518C: 7E0C4506
	v_rcp_f32_e32 v7, v7                                       // 000000005190: 7E0E4507
	v_mul_f32_e32 v44, v44, v4                                 // 000000005194: 0A58092C
	v_mul_f32_e32 v45, v45, v5                                 // 000000005198: 0A5A0B2D
	v_mul_f32_e32 v46, v46, v6                                 // 00000000519C: 0A5C0D2E
	v_mul_f32_e32 v47, v47, v7                                 // 0000000051A0: 0A5E0F2F
	v_mul_f32_e32 v44, v44, v60                                // 0000000051A4: 0A58792C
	v_mul_f32_e32 v45, v45, v61                                // 0000000051A8: 0A5A7B2D
	v_mul_f32_e32 v46, v46, v62                                // 0000000051AC: 0A5C7D2E
	v_mul_f32_e32 v47, v47, v63                                // 0000000051B0: 0A5E7F2F
	v_mul_f32_e64 v4, -v48, s6                                 // 0000000051B4: D1050004 20000D30
	v_mul_f32_e64 v5, -v49, s6                                 // 0000000051BC: D1050005 20000D31
	v_mul_f32_e64 v6, -v50, s6                                 // 0000000051C4: D1050006 20000D32
	v_mul_f32_e64 v7, -v51, s6                                 // 0000000051CC: D1050007 20000D33
	v_exp_f32_e32 v4, v4                                       // 0000000051D4: 7E084104
	v_exp_f32_e32 v5, v5                                       // 0000000051D8: 7E0A4105
	v_exp_f32_e32 v6, v6                                       // 0000000051DC: 7E0C4106
	v_exp_f32_e32 v7, v7                                       // 0000000051E0: 7E0E4107
	v_add_f32_e64 v4, v4, 1.0                                  // 0000000051E4: D1010004 0001E504
	v_add_f32_e64 v5, v5, 1.0                                  // 0000000051EC: D1010005 0001E505
	v_add_f32_e64 v6, v6, 1.0                                  // 0000000051F4: D1010006 0001E506
	v_add_f32_e64 v7, v7, 1.0                                  // 0000000051FC: D1010007 0001E507
	v_rcp_f32_e32 v4, v4                                       // 000000005204: 7E084504
	v_rcp_f32_e32 v5, v5                                       // 000000005208: 7E0A4505
	v_rcp_f32_e32 v6, v6                                       // 00000000520C: 7E0C4506
	v_rcp_f32_e32 v7, v7                                       // 000000005210: 7E0E4507
	v_mul_f32_e32 v48, v48, v4                                 // 000000005214: 0A600930
	v_mul_f32_e32 v49, v49, v5                                 // 000000005218: 0A620B31
	v_mul_f32_e32 v50, v50, v6                                 // 00000000521C: 0A640D32
	v_mul_f32_e32 v51, v51, v7                                 // 000000005220: 0A660F33
	v_mul_f32_e32 v48, v48, v64                                // 000000005224: 0A608130
	v_mul_f32_e32 v49, v49, v65                                // 000000005228: 0A628331
	v_mul_f32_e32 v50, v50, v66                                // 00000000522C: 0A648532
	v_mul_f32_e32 v51, v51, v67                                // 000000005230: 0A668733
	v_mul_f32_e64 v4, -v52, s6                                 // 000000005234: D1050004 20000D34
	v_mul_f32_e64 v5, -v53, s6                                 // 00000000523C: D1050005 20000D35
	v_mul_f32_e64 v6, -v54, s6                                 // 000000005244: D1050006 20000D36
	v_mul_f32_e64 v7, -v55, s6                                 // 00000000524C: D1050007 20000D37
	v_exp_f32_e32 v4, v4                                       // 000000005254: 7E084104
	v_exp_f32_e32 v5, v5                                       // 000000005258: 7E0A4105
	v_exp_f32_e32 v6, v6                                       // 00000000525C: 7E0C4106
	v_exp_f32_e32 v7, v7                                       // 000000005260: 7E0E4107
	v_add_f32_e64 v4, v4, 1.0                                  // 000000005264: D1010004 0001E504
	v_add_f32_e64 v5, v5, 1.0                                  // 00000000526C: D1010005 0001E505
	v_add_f32_e64 v6, v6, 1.0                                  // 000000005274: D1010006 0001E506
	v_add_f32_e64 v7, v7, 1.0                                  // 00000000527C: D1010007 0001E507
	v_rcp_f32_e32 v4, v4                                       // 000000005284: 7E084504
	v_rcp_f32_e32 v5, v5                                       // 000000005288: 7E0A4505
	v_rcp_f32_e32 v6, v6                                       // 00000000528C: 7E0C4506
	v_rcp_f32_e32 v7, v7                                       // 000000005290: 7E0E4507
	v_mul_f32_e32 v52, v52, v4                                 // 000000005294: 0A680934
	v_mul_f32_e32 v53, v53, v5                                 // 000000005298: 0A6A0B35
	v_mul_f32_e32 v54, v54, v6                                 // 00000000529C: 0A6C0D36
	v_mul_f32_e32 v55, v55, v7                                 // 0000000052A0: 0A6E0F37
	v_mul_f32_e32 v52, v52, v68                                // 0000000052A4: 0A688934
	v_mul_f32_e32 v53, v53, v69                                // 0000000052A8: 0A6A8B35
	v_mul_f32_e32 v54, v54, v70                                // 0000000052AC: 0A6C8D36
	v_mul_f32_e32 v55, v55, v71                                // 0000000052B0: 0A6E8F37
	v_mul_f32_e64 v4, -v56, s6                                 // 0000000052B4: D1050004 20000D38
	v_mul_f32_e64 v5, -v57, s6                                 // 0000000052BC: D1050005 20000D39
	v_mul_f32_e64 v6, -v58, s6                                 // 0000000052C4: D1050006 20000D3A
	v_mul_f32_e64 v7, -v59, s6                                 // 0000000052CC: D1050007 20000D3B
	v_exp_f32_e32 v4, v4                                       // 0000000052D4: 7E084104
	v_exp_f32_e32 v5, v5                                       // 0000000052D8: 7E0A4105
	v_exp_f32_e32 v6, v6                                       // 0000000052DC: 7E0C4106
	v_exp_f32_e32 v7, v7                                       // 0000000052E0: 7E0E4107
	v_add_f32_e64 v4, v4, 1.0                                  // 0000000052E4: D1010004 0001E504
	v_add_f32_e64 v5, v5, 1.0                                  // 0000000052EC: D1010005 0001E505
	v_add_f32_e64 v6, v6, 1.0                                  // 0000000052F4: D1010006 0001E506
	v_add_f32_e64 v7, v7, 1.0                                  // 0000000052FC: D1010007 0001E507
	v_rcp_f32_e32 v4, v4                                       // 000000005304: 7E084504
	v_rcp_f32_e32 v5, v5                                       // 000000005308: 7E0A4505
	v_rcp_f32_e32 v6, v6                                       // 00000000530C: 7E0C4506
	v_rcp_f32_e32 v7, v7                                       // 000000005310: 7E0E4507
	v_mul_f32_e32 v56, v56, v4                                 // 000000005314: 0A700938
	v_mul_f32_e32 v57, v57, v5                                 // 000000005318: 0A720B39
	v_mul_f32_e32 v58, v58, v6                                 // 00000000531C: 0A740D3A
	v_mul_f32_e32 v59, v59, v7                                 // 000000005320: 0A760F3B
	v_mul_f32_e32 v56, v56, v72                                // 000000005324: 0A709138
	v_mul_f32_e32 v57, v57, v73                                // 000000005328: 0A729339
	v_mul_f32_e32 v58, v58, v74                                // 00000000532C: 0A74953A
	v_mul_f32_e32 v59, v59, v75                                // 000000005330: 0A76973B

0000000000005334 <label_0A50>:
	v_cmp_u_f32_e64 s[46:47], v44, v44                         // 000000005334: D048002E 0002592C
	v_add3_u32 v16, v44, v19, 1                                // 00000000533C: D1FF0010 0206272C
	v_cndmask_b32_e64 v4, v16, v18, s[46:47]                   // 000000005344: D1000004 00BA2510
	v_cmp_u_f32_e64 s[46:47], v45, v45                         // 00000000534C: D048002E 00025B2D
	v_add3_u32 v16, v45, v19, 1                                // 000000005354: D1FF0010 0206272D
	v_cndmask_b32_e64 v5, v16, v18, s[46:47]                   // 00000000535C: D1000005 00BA2510
	v_perm_b32 v44, v5, v4, s52                                // 000000005364: D1ED002C 00D20905
	v_cmp_u_f32_e64 s[46:47], v46, v46                         // 00000000536C: D048002E 00025D2E
	v_add3_u32 v16, v46, v19, 1                                // 000000005374: D1FF0010 0206272E
	v_cndmask_b32_e64 v4, v16, v18, s[46:47]                   // 00000000537C: D1000004 00BA2510
	v_cmp_u_f32_e64 s[46:47], v47, v47                         // 000000005384: D048002E 00025F2F
	v_add3_u32 v16, v47, v19, 1                                // 00000000538C: D1FF0010 0206272F
	v_cndmask_b32_e64 v5, v16, v18, s[46:47]                   // 000000005394: D1000005 00BA2510
	v_perm_b32 v45, v5, v4, s52                                // 00000000539C: D1ED002D 00D20905
	v_cmp_u_f32_e64 s[46:47], v48, v48                         // 0000000053A4: D048002E 00026130
	v_add3_u32 v16, v48, v19, 1                                // 0000000053AC: D1FF0010 02062730
	v_cndmask_b32_e64 v4, v16, v18, s[46:47]                   // 0000000053B4: D1000004 00BA2510
	v_cmp_u_f32_e64 s[46:47], v49, v49                         // 0000000053BC: D048002E 00026331
	v_add3_u32 v16, v49, v19, 1                                // 0000000053C4: D1FF0010 02062731
	v_cndmask_b32_e64 v5, v16, v18, s[46:47]                   // 0000000053CC: D1000005 00BA2510
	v_perm_b32 v46, v5, v4, s52                                // 0000000053D4: D1ED002E 00D20905
	v_cmp_u_f32_e64 s[46:47], v50, v50                         // 0000000053DC: D048002E 00026532
	v_add3_u32 v16, v50, v19, 1                                // 0000000053E4: D1FF0010 02062732
	v_cndmask_b32_e64 v4, v16, v18, s[46:47]                   // 0000000053EC: D1000004 00BA2510
	v_cmp_u_f32_e64 s[46:47], v51, v51                         // 0000000053F4: D048002E 00026733
	v_add3_u32 v16, v51, v19, 1                                // 0000000053FC: D1FF0010 02062733
	v_cndmask_b32_e64 v5, v16, v18, s[46:47]                   // 000000005404: D1000005 00BA2510
	v_perm_b32 v47, v5, v4, s52                                // 00000000540C: D1ED002F 00D20905
	v_cmp_u_f32_e64 s[46:47], v52, v52                         // 000000005414: D048002E 00026934
	v_add3_u32 v16, v52, v19, 1                                // 00000000541C: D1FF0010 02062734
	v_cndmask_b32_e64 v4, v16, v18, s[46:47]                   // 000000005424: D1000004 00BA2510
	v_cmp_u_f32_e64 s[46:47], v53, v53                         // 00000000542C: D048002E 00026B35
	v_add3_u32 v16, v53, v19, 1                                // 000000005434: D1FF0010 02062735
	v_cndmask_b32_e64 v5, v16, v18, s[46:47]                   // 00000000543C: D1000005 00BA2510
	v_perm_b32 v48, v5, v4, s52                                // 000000005444: D1ED0030 00D20905
	v_cmp_u_f32_e64 s[46:47], v54, v54                         // 00000000544C: D048002E 00026D36
	v_add3_u32 v16, v54, v19, 1                                // 000000005454: D1FF0010 02062736
	v_cndmask_b32_e64 v4, v16, v18, s[46:47]                   // 00000000545C: D1000004 00BA2510
	v_cmp_u_f32_e64 s[46:47], v55, v55                         // 000000005464: D048002E 00026F37
	v_add3_u32 v16, v55, v19, 1                                // 00000000546C: D1FF0010 02062737
	v_cndmask_b32_e64 v5, v16, v18, s[46:47]                   // 000000005474: D1000005 00BA2510
	v_perm_b32 v49, v5, v4, s52                                // 00000000547C: D1ED0031 00D20905
	v_cmp_u_f32_e64 s[46:47], v56, v56                         // 000000005484: D048002E 00027138
	v_add3_u32 v16, v56, v19, 1                                // 00000000548C: D1FF0010 02062738
	v_cndmask_b32_e64 v4, v16, v18, s[46:47]                   // 000000005494: D1000004 00BA2510
	v_cmp_u_f32_e64 s[46:47], v57, v57                         // 00000000549C: D048002E 00027339
	v_add3_u32 v16, v57, v19, 1                                // 0000000054A4: D1FF0010 02062739
	v_cndmask_b32_e64 v5, v16, v18, s[46:47]                   // 0000000054AC: D1000005 00BA2510
	v_perm_b32 v50, v5, v4, s52                                // 0000000054B4: D1ED0032 00D20905
	v_cmp_u_f32_e64 s[46:47], v58, v58                         // 0000000054BC: D048002E 0002753A
	v_add3_u32 v16, v58, v19, 1                                // 0000000054C4: D1FF0010 0206273A
	v_cndmask_b32_e64 v4, v16, v18, s[46:47]                   // 0000000054CC: D1000004 00BA2510
	v_cmp_u_f32_e64 s[46:47], v59, v59                         // 0000000054D4: D048002E 0002773B
	v_add3_u32 v16, v59, v19, 1                                // 0000000054DC: D1FF0010 0206273B
	v_cndmask_b32_e64 v5, v16, v18, s[46:47]                   // 0000000054E4: D1000005 00BA2510
	v_perm_b32 v51, v5, v4, s52                                // 0000000054EC: D1ED0033 00D20905
	ds_write_b64 v20, v[44:45]                                 // 0000000054F4: D89A0000 00002C14
	ds_write_b64 v20, v[46:47] offset:4352                     // 0000000054FC: D89A1100 00002E14
	ds_write_b64 v20, v[48:49] offset:2176                     // 000000005504: D89A0880 00003014
	ds_write_b64 v20, v[50:51] offset:6528                     // 00000000550C: D89A1980 00003214
	v_lshrrev_b32_e32 v4, 5, v0                                // 000000005514: 20080085
	v_xor_b32_e32 v5, 1, v4                                    // 000000005518: 2A0A0881
	s_mul_i32 s60, s65, 2                                      // 00000000551C: 923C8241
	s_cmp_eq_u32 s88, 0                                        // 000000005520: BF068058
	s_cselect_b32 s61, 1, 4                                    // 000000005524: 853D8481
	s_mul_i32 s60, s61, s60                                    // 000000005528: 923C3C3D
	v_readlane_b32 s82, v3, 0                                  // 00000000552C: D2890052 00010103
	s_lshr_b32 s61, s82, 24                                    // 000000005534: 8F3D9852
	s_and_b32 s82, s82, 0xffffff                               // 000000005538: 8652FF52 00FFFFFF
	s_mul_i32 s82, s82, s71                                    // 000000005540: 92524752
	s_mul_i32 s61, s60, s61                                    // 000000005544: 923D3D3C
	s_add_u32 s82, s82, s61                                    // 000000005548: 80523D52
	v_mul_lo_u32 v6, v5, s82                                   // 00000000554C: D2850006 0000A505
	v_readlane_b32 s82, v3, 1                                  // 000000005554: D2890052 00010303
	s_lshr_b32 s61, s82, 24                                    // 00000000555C: 8F3D9852
	s_and_b32 s82, s82, 0xffffff                               // 000000005560: 8652FF52 00FFFFFF
	s_mul_i32 s82, s82, s71                                    // 000000005568: 92524752
	s_mul_i32 s61, s60, s61                                    // 00000000556C: 923D3D3C
	s_add_u32 s82, s82, s61                                    // 000000005570: 80523D52
	v_mul_lo_u32 v7, v4, s82                                   // 000000005574: D2850007 0000A504
	v_add_u32_e32 v36, v6, v7                                  // 00000000557C: 68480F06
	v_readlane_b32 s82, v3, 2                                  // 000000005580: D2890052 00010503
	s_lshr_b32 s61, s82, 24                                    // 000000005588: 8F3D9852
	s_and_b32 s82, s82, 0xffffff                               // 00000000558C: 8652FF52 00FFFFFF
	s_mul_i32 s82, s82, s71                                    // 000000005594: 92524752
	s_mul_i32 s61, s60, s61                                    // 000000005598: 923D3D3C
	s_add_u32 s82, s82, s61                                    // 00000000559C: 80523D52
	v_mul_lo_u32 v6, v5, s82                                   // 0000000055A0: D2850006 0000A505
	v_readlane_b32 s82, v3, 3                                  // 0000000055A8: D2890052 00010703
	s_lshr_b32 s61, s82, 24                                    // 0000000055B0: 8F3D9852
	s_and_b32 s82, s82, 0xffffff                               // 0000000055B4: 8652FF52 00FFFFFF
	s_mul_i32 s82, s82, s71                                    // 0000000055BC: 92524752
	s_mul_i32 s61, s60, s61                                    // 0000000055C0: 923D3D3C
	s_add_u32 s82, s82, s61                                    // 0000000055C4: 80523D52
	v_mul_lo_u32 v7, v4, s82                                   // 0000000055C8: D2850007 0000A504
	v_add_u32_e32 v37, v6, v7                                  // 0000000055D0: 684A0F06
	v_readlane_b32 s82, v3, 4                                  // 0000000055D4: D2890052 00010903
	s_lshr_b32 s61, s82, 24                                    // 0000000055DC: 8F3D9852
	s_and_b32 s82, s82, 0xffffff                               // 0000000055E0: 8652FF52 00FFFFFF
	s_mul_i32 s82, s82, s71                                    // 0000000055E8: 92524752
	s_mul_i32 s61, s60, s61                                    // 0000000055EC: 923D3D3C
	s_add_u32 s82, s82, s61                                    // 0000000055F0: 80523D52
	v_mul_lo_u32 v6, v5, s82                                   // 0000000055F4: D2850006 0000A505
	v_readlane_b32 s82, v3, 5                                  // 0000000055FC: D2890052 00010B03
	s_lshr_b32 s61, s82, 24                                    // 000000005604: 8F3D9852
	s_and_b32 s82, s82, 0xffffff                               // 000000005608: 8652FF52 00FFFFFF
	s_mul_i32 s82, s82, s71                                    // 000000005610: 92524752
	s_mul_i32 s61, s60, s61                                    // 000000005614: 923D3D3C
	s_add_u32 s82, s82, s61                                    // 000000005618: 80523D52
	v_mul_lo_u32 v7, v4, s82                                   // 00000000561C: D2850007 0000A504
	v_add_u32_e32 v38, v6, v7                                  // 000000005624: 684C0F06
	v_readlane_b32 s82, v3, 6                                  // 000000005628: D2890052 00010D03
	s_lshr_b32 s61, s82, 24                                    // 000000005630: 8F3D9852
	s_and_b32 s82, s82, 0xffffff                               // 000000005634: 8652FF52 00FFFFFF
	s_mul_i32 s82, s82, s71                                    // 00000000563C: 92524752
	s_mul_i32 s61, s60, s61                                    // 000000005640: 923D3D3C
	s_add_u32 s82, s82, s61                                    // 000000005644: 80523D52
	v_mul_lo_u32 v6, v5, s82                                   // 000000005648: D2850006 0000A505
	v_readlane_b32 s82, v3, 7                                  // 000000005650: D2890052 00010F03
	s_lshr_b32 s61, s82, 24                                    // 000000005658: 8F3D9852
	s_and_b32 s82, s82, 0xffffff                               // 00000000565C: 8652FF52 00FFFFFF
	s_mul_i32 s82, s82, s71                                    // 000000005664: 92524752
	s_mul_i32 s61, s60, s61                                    // 000000005668: 923D3D3C
	s_add_u32 s82, s82, s61                                    // 00000000566C: 80523D52
	v_mul_lo_u32 v7, v4, s82                                   // 000000005670: D2850007 0000A504
	v_add_u32_e32 v39, v6, v7                                  // 000000005678: 684E0F06
	v_and_b32_e32 v4, 31, v0                                   // 00000000567C: 2608009F
	v_lshrrev_b32_e32 v4, 1, v4                                // 000000005680: 20080881
	s_cmp_eq_u32 s88, 0                                        // 000000005684: BF068058
	s_cselect_b32 s61, 2, 4                                    // 000000005688: 853D8482
	v_mul_lo_u32 v4, v4, s61                                   // 00000000568C: D2850004 00007B04
	v_and_b32_e64 v5, v0, 1                                    // 000000005694: D1130005 00010300
	v_add_u32_e32 v4, v4, v5                                   // 00000000569C: 68080B04
	v_lshlrev_b32_e32 v4, 2, v4                                // 0000000056A0: 24080882
	v_add_u32_e32 v36, v36, v4                                 // 0000000056A4: 68480924
	v_add_u32_e32 v37, v37, v4                                 // 0000000056A8: 684A0925
	v_add_u32_e32 v38, v38, v4                                 // 0000000056AC: 684C0926
	v_add_u32_e32 v39, v39, v4                                 // 0000000056B0: 684E0927
	s_waitcnt lgkmcnt(0)                                       // 0000000056B4: BF8CC07F
	s_barrier                                                  // 0000000056B8: BF8A0000
	ds_read_b32 v44, v21                                       // 0000000056BC: D86C0000 2C000015
	ds_read_b32 v45, v21 offset:64                             // 0000000056C4: D86C0040 2D000015
	ds_read_b32 v46, v21 offset:2176                           // 0000000056CC: D86C0880 2E000015
	ds_read_b32 v47, v21 offset:2240                           // 0000000056D4: D86C08C0 2F000015
	ds_read_b32 v48, v21 offset:4352                           // 0000000056DC: D86C1100 30000015
	ds_read_b32 v49, v21 offset:4416                           // 0000000056E4: D86C1140 31000015
	ds_read_b32 v50, v21 offset:6528                           // 0000000056EC: D86C1980 32000015
	ds_read_b32 v51, v21 offset:6592                           // 0000000056F4: D86C19C0 33000015
	s_waitcnt lgkmcnt(0)                                       // 0000000056FC: BF8CC07F
	s_mov_b32 s36, -1                                          // 000000005700: BEA400C1
	s_mov_b32 s37, -1                                          // 000000005704: BEA500C1
	v_mov_b32_e32 v7, 0                                        // 000000005708: 7E0E0280
	s_or_b32 s9, s9, 0x40000                                   // 00000000570C: 8709FF09 00040000
	s_mov_b64 exec, s[36:37]                                   // 000000005714: BEFE0124
	v_mov_b32_e32 v6, v36                                      // 000000005718: 7E0C0324
	s_mov_b64 s[60:61], 0                                      // 00000000571C: BEBC0180
	v_readlane_b32 s82, v3, 0                                  // 000000005720: D2890052 00010103
	s_and_b32 s82, s82, 0xffffff                               // 000000005728: 8652FF52 00FFFFFF
	s_cmp_lt_u32 s82, s66                                      // 000000005730: BF0A4252
	s_cselect_b32 s20, s36, s60                                // 000000005734: 85143C24
	v_readlane_b32 s82, v3, 1                                  // 000000005738: D2890052 00010303
	s_and_b32 s82, s82, 0xffffff                               // 000000005740: 8652FF52 00FFFFFF
	s_cmp_lt_u32 s82, s66                                      // 000000005748: BF0A4252
	s_cselect_b32 s21, s36, s60                                // 00000000574C: 85153C24
	s_mov_b64 exec, s[20:21]                                   // 000000005750: BEFE0114
	buffer_store_dword v44, v6, s[8:11], 0 offen               // 000000005754: E0701000 80022C06
	buffer_store_dword v46, v6, s[8:11], 0 offen offset:128    // 00000000575C: E0701080 80022E06
	s_mov_b64 exec, s[36:37]                                   // 000000005764: BEFE0124
	v_mov_b32_e32 v6, v37                                      // 000000005768: 7E0C0325
	s_mov_b64 s[60:61], 0                                      // 00000000576C: BEBC0180
	v_readlane_b32 s82, v3, 2                                  // 000000005770: D2890052 00010503
	s_and_b32 s82, s82, 0xffffff                               // 000000005778: 8652FF52 00FFFFFF
	s_cmp_lt_u32 s82, s66                                      // 000000005780: BF0A4252
	s_cselect_b32 s20, s36, s60                                // 000000005784: 85143C24
	v_readlane_b32 s82, v3, 3                                  // 000000005788: D2890052 00010703
	s_and_b32 s82, s82, 0xffffff                               // 000000005790: 8652FF52 00FFFFFF
	s_cmp_lt_u32 s82, s66                                      // 000000005798: BF0A4252
	s_cselect_b32 s21, s36, s60                                // 00000000579C: 85153C24
	s_mov_b64 exec, s[20:21]                                   // 0000000057A0: BEFE0114
	buffer_store_dword v45, v6, s[8:11], 0 offen               // 0000000057A4: E0701000 80022D06
	buffer_store_dword v47, v6, s[8:11], 0 offen offset:128    // 0000000057AC: E0701080 80022F06
	s_mov_b64 exec, s[36:37]                                   // 0000000057B4: BEFE0124
	v_mov_b32_e32 v6, v38                                      // 0000000057B8: 7E0C0326
	s_mov_b64 s[60:61], 0                                      // 0000000057BC: BEBC0180
	v_readlane_b32 s82, v3, 4                                  // 0000000057C0: D2890052 00010903
	s_and_b32 s82, s82, 0xffffff                               // 0000000057C8: 8652FF52 00FFFFFF
	s_cmp_lt_u32 s82, s66                                      // 0000000057D0: BF0A4252
	s_cselect_b32 s20, s36, s60                                // 0000000057D4: 85143C24
	v_readlane_b32 s82, v3, 5                                  // 0000000057D8: D2890052 00010B03
	s_and_b32 s82, s82, 0xffffff                               // 0000000057E0: 8652FF52 00FFFFFF
	s_cmp_lt_u32 s82, s66                                      // 0000000057E8: BF0A4252
	s_cselect_b32 s21, s36, s60                                // 0000000057EC: 85153C24
	s_mov_b64 exec, s[20:21]                                   // 0000000057F0: BEFE0114
	buffer_store_dword v48, v6, s[8:11], 0 offen               // 0000000057F4: E0701000 80023006
	buffer_store_dword v50, v6, s[8:11], 0 offen offset:128    // 0000000057FC: E0701080 80023206
	s_mov_b64 exec, s[36:37]                                   // 000000005804: BEFE0124
	v_mov_b32_e32 v6, v39                                      // 000000005808: 7E0C0327
	s_mov_b64 s[60:61], 0                                      // 00000000580C: BEBC0180
	v_readlane_b32 s82, v3, 6                                  // 000000005810: D2890052 00010D03
	s_and_b32 s82, s82, 0xffffff                               // 000000005818: 8652FF52 00FFFFFF
	s_cmp_lt_u32 s82, s66                                      // 000000005820: BF0A4252
	s_cselect_b32 s20, s36, s60                                // 000000005824: 85143C24
	v_readlane_b32 s82, v3, 7                                  // 000000005828: D2890052 00010F03
	s_and_b32 s82, s82, 0xffffff                               // 000000005830: 8652FF52 00FFFFFF
	s_cmp_lt_u32 s82, s66                                      // 000000005838: BF0A4252
	s_cselect_b32 s21, s36, s60                                // 00000000583C: 85153C24
	s_mov_b64 exec, s[20:21]                                   // 000000005840: BEFE0114
	buffer_store_dword v49, v6, s[8:11], 0 offen               // 000000005844: E0701000 80023106
	buffer_store_dword v51, v6, s[8:11], 0 offen offset:128    // 00000000584C: E0701080 80023306
	s_mov_b64 exec, s[36:37]                                   // 000000005854: BEFE0124
	s_branch label_0DBC                                        // 000000005858: BF820222

000000000000585c <label_0B9A>:
	ds_write_b64 v20, v[44:45]                                 // 00000000585C: D89A0000 00002C14
	ds_write_b64 v20, v[48:49] offset:4352                     // 000000005864: D89A1100 00003014
	ds_write_b64 v20, v[52:53] offset:2176                     // 00000000586C: D89A0880 00003414
	ds_write_b64 v20, v[56:57] offset:6528                     // 000000005874: D89A1980 00003814
	v_lshrrev_b32_e32 v4, 5, v0                                // 00000000587C: 20080085
	v_xor_b32_e32 v5, 1, v4                                    // 000000005880: 2A0A0881
	s_mul_i32 s60, s65, 2                                      // 000000005884: 923C8241
	s_cmp_eq_u32 s88, 0                                        // 000000005888: BF068058
	s_cselect_b32 s61, 1, 4                                    // 00000000588C: 853D8481
	s_mul_i32 s60, s61, s60                                    // 000000005890: 923C3C3D
	v_readlane_b32 s82, v3, 0                                  // 000000005894: D2890052 00010103
	s_lshr_b32 s61, s82, 24                                    // 00000000589C: 8F3D9852
	s_and_b32 s82, s82, 0xffffff                               // 0000000058A0: 8652FF52 00FFFFFF
	s_mul_i32 s82, s82, s71                                    // 0000000058A8: 92524752
	s_mul_i32 s61, s60, s61                                    // 0000000058AC: 923D3D3C
	s_add_u32 s82, s82, s61                                    // 0000000058B0: 80523D52
	v_mul_lo_u32 v6, v5, s82                                   // 0000000058B4: D2850006 0000A505
	v_readlane_b32 s82, v3, 1                                  // 0000000058BC: D2890052 00010303
	s_lshr_b32 s61, s82, 24                                    // 0000000058C4: 8F3D9852
	s_and_b32 s82, s82, 0xffffff                               // 0000000058C8: 8652FF52 00FFFFFF
	s_mul_i32 s82, s82, s71                                    // 0000000058D0: 92524752
	s_mul_i32 s61, s60, s61                                    // 0000000058D4: 923D3D3C
	s_add_u32 s82, s82, s61                                    // 0000000058D8: 80523D52
	v_mul_lo_u32 v7, v4, s82                                   // 0000000058DC: D2850007 0000A504
	v_add_u32_e32 v36, v6, v7                                  // 0000000058E4: 68480F06
	v_readlane_b32 s82, v3, 2                                  // 0000000058E8: D2890052 00010503
	s_lshr_b32 s61, s82, 24                                    // 0000000058F0: 8F3D9852
	s_and_b32 s82, s82, 0xffffff                               // 0000000058F4: 8652FF52 00FFFFFF
	s_mul_i32 s82, s82, s71                                    // 0000000058FC: 92524752
	s_mul_i32 s61, s60, s61                                    // 000000005900: 923D3D3C
	s_add_u32 s82, s82, s61                                    // 000000005904: 80523D52
	v_mul_lo_u32 v6, v5, s82                                   // 000000005908: D2850006 0000A505
	v_readlane_b32 s82, v3, 3                                  // 000000005910: D2890052 00010703
	s_lshr_b32 s61, s82, 24                                    // 000000005918: 8F3D9852
	s_and_b32 s82, s82, 0xffffff                               // 00000000591C: 8652FF52 00FFFFFF
	s_mul_i32 s82, s82, s71                                    // 000000005924: 92524752
	s_mul_i32 s61, s60, s61                                    // 000000005928: 923D3D3C
	s_add_u32 s82, s82, s61                                    // 00000000592C: 80523D52
	v_mul_lo_u32 v7, v4, s82                                   // 000000005930: D2850007 0000A504
	v_add_u32_e32 v37, v6, v7                                  // 000000005938: 684A0F06
	v_readlane_b32 s82, v3, 4                                  // 00000000593C: D2890052 00010903
	s_lshr_b32 s61, s82, 24                                    // 000000005944: 8F3D9852
	s_and_b32 s82, s82, 0xffffff                               // 000000005948: 8652FF52 00FFFFFF
	s_mul_i32 s82, s82, s71                                    // 000000005950: 92524752
	s_mul_i32 s61, s60, s61                                    // 000000005954: 923D3D3C
	s_add_u32 s82, s82, s61                                    // 000000005958: 80523D52
	v_mul_lo_u32 v6, v5, s82                                   // 00000000595C: D2850006 0000A505
	v_readlane_b32 s82, v3, 5                                  // 000000005964: D2890052 00010B03
	s_lshr_b32 s61, s82, 24                                    // 00000000596C: 8F3D9852
	s_and_b32 s82, s82, 0xffffff                               // 000000005970: 8652FF52 00FFFFFF
	s_mul_i32 s82, s82, s71                                    // 000000005978: 92524752
	s_mul_i32 s61, s60, s61                                    // 00000000597C: 923D3D3C
	s_add_u32 s82, s82, s61                                    // 000000005980: 80523D52
	v_mul_lo_u32 v7, v4, s82                                   // 000000005984: D2850007 0000A504
	v_add_u32_e32 v38, v6, v7                                  // 00000000598C: 684C0F06
	v_readlane_b32 s82, v3, 6                                  // 000000005990: D2890052 00010D03
	s_lshr_b32 s61, s82, 24                                    // 000000005998: 8F3D9852
	s_and_b32 s82, s82, 0xffffff                               // 00000000599C: 8652FF52 00FFFFFF
	s_mul_i32 s82, s82, s71                                    // 0000000059A4: 92524752
	s_mul_i32 s61, s60, s61                                    // 0000000059A8: 923D3D3C
	s_add_u32 s82, s82, s61                                    // 0000000059AC: 80523D52
	v_mul_lo_u32 v6, v5, s82                                   // 0000000059B0: D2850006 0000A505
	v_readlane_b32 s82, v3, 7                                  // 0000000059B8: D2890052 00010F03
	s_lshr_b32 s61, s82, 24                                    // 0000000059C0: 8F3D9852
	s_and_b32 s82, s82, 0xffffff                               // 0000000059C4: 8652FF52 00FFFFFF
	s_mul_i32 s82, s82, s71                                    // 0000000059CC: 92524752
	s_mul_i32 s61, s60, s61                                    // 0000000059D0: 923D3D3C
	s_add_u32 s82, s82, s61                                    // 0000000059D4: 80523D52
	v_mul_lo_u32 v7, v4, s82                                   // 0000000059D8: D2850007 0000A504
	v_add_u32_e32 v39, v6, v7                                  // 0000000059E0: 684E0F06
	v_and_b32_e32 v4, 31, v0                                   // 0000000059E4: 2608009F
	v_lshrrev_b32_e32 v4, 1, v4                                // 0000000059E8: 20080881
	s_cmp_eq_u32 s88, 0                                        // 0000000059EC: BF068058
	s_cselect_b32 s61, 2, 4                                    // 0000000059F0: 853D8482
	v_mul_lo_u32 v4, v4, s61                                   // 0000000059F4: D2850004 00007B04
	v_and_b32_e64 v5, v0, 1                                    // 0000000059FC: D1130005 00010300
	v_add_u32_e32 v4, v4, v5                                   // 000000005A04: 68080B04
	v_lshlrev_b32_e32 v4, 2, v4                                // 000000005A08: 24080882
	v_add_u32_e32 v36, v36, v4                                 // 000000005A0C: 68480924
	v_add_u32_e32 v37, v37, v4                                 // 000000005A10: 684A0925
	v_add_u32_e32 v38, v38, v4                                 // 000000005A14: 684C0926
	v_add_u32_e32 v39, v39, v4                                 // 000000005A18: 684E0927
	s_waitcnt lgkmcnt(0)                                       // 000000005A1C: BF8CC07F
	s_barrier                                                  // 000000005A20: BF8A0000
	ds_read_b32 v44, v21                                       // 000000005A24: D86C0000 2C000015
	ds_read_b32 v45, v21 offset:64                             // 000000005A2C: D86C0040 2D000015
	ds_read_b32 v48, v21 offset:2176                           // 000000005A34: D86C0880 30000015
	ds_read_b32 v49, v21 offset:2240                           // 000000005A3C: D86C08C0 31000015
	ds_read_b32 v52, v21 offset:4352                           // 000000005A44: D86C1100 34000015
	ds_read_b32 v53, v21 offset:4416                           // 000000005A4C: D86C1140 35000015
	ds_read_b32 v56, v21 offset:6528                           // 000000005A54: D86C1980 38000015
	ds_read_b32 v57, v21 offset:6592                           // 000000005A5C: D86C19C0 39000015
	s_waitcnt lgkmcnt(0)                                       // 000000005A64: BF8CC07F
	s_mov_b32 s36, -1                                          // 000000005A68: BEA400C1
	s_mov_b32 s37, -1                                          // 000000005A6C: BEA500C1
	v_mov_b32_e32 v7, 0                                        // 000000005A70: 7E0E0280
	s_mov_b64 exec, s[36:37]                                   // 000000005A74: BEFE0124
	v_mov_b32_e32 v6, v36                                      // 000000005A78: 7E0C0324
	s_mov_b64 s[60:61], 0                                      // 000000005A7C: BEBC0180
	v_readlane_b32 s82, v3, 0                                  // 000000005A80: D2890052 00010103
	s_and_b32 s82, s82, 0xffffff                               // 000000005A88: 8652FF52 00FFFFFF
	s_cmp_lt_u32 s82, s66                                      // 000000005A90: BF0A4252
	s_cselect_b32 s20, s36, s60                                // 000000005A94: 85143C24
	v_readlane_b32 s82, v3, 1                                  // 000000005A98: D2890052 00010303
	s_and_b32 s82, s82, 0xffffff                               // 000000005AA0: 8652FF52 00FFFFFF
	s_cmp_lt_u32 s82, s66                                      // 000000005AA8: BF0A4252
	s_cselect_b32 s21, s36, s60                                // 000000005AAC: 85153C24
	s_mov_b64 exec, s[20:21]                                   // 000000005AB0: BEFE0114
	global_atomic_add_f32 v6, v44, s[8:9]                      // 000000005AB4: DD348000 00082C06
	global_atomic_add_f32 v6, v48, s[8:9] offset:256           // 000000005ABC: DD348100 00083006
	s_mov_b64 exec, s[36:37]                                   // 000000005AC4: BEFE0124
	v_mov_b32_e32 v6, v37                                      // 000000005AC8: 7E0C0325
	s_mov_b64 s[60:61], 0                                      // 000000005ACC: BEBC0180
	v_readlane_b32 s82, v3, 2                                  // 000000005AD0: D2890052 00010503
	s_and_b32 s82, s82, 0xffffff                               // 000000005AD8: 8652FF52 00FFFFFF
	s_cmp_lt_u32 s82, s66                                      // 000000005AE0: BF0A4252
	s_cselect_b32 s20, s36, s60                                // 000000005AE4: 85143C24
	v_readlane_b32 s82, v3, 3                                  // 000000005AE8: D2890052 00010703
	s_and_b32 s82, s82, 0xffffff                               // 000000005AF0: 8652FF52 00FFFFFF
	s_cmp_lt_u32 s82, s66                                      // 000000005AF8: BF0A4252
	s_cselect_b32 s21, s36, s60                                // 000000005AFC: 85153C24
	s_mov_b64 exec, s[20:21]                                   // 000000005B00: BEFE0114
	global_atomic_add_f32 v6, v45, s[8:9]                      // 000000005B04: DD348000 00082D06
	global_atomic_add_f32 v6, v49, s[8:9] offset:256           // 000000005B0C: DD348100 00083106
	s_mov_b64 exec, s[36:37]                                   // 000000005B14: BEFE0124
	v_mov_b32_e32 v6, v38                                      // 000000005B18: 7E0C0326
	s_mov_b64 s[60:61], 0                                      // 000000005B1C: BEBC0180
	v_readlane_b32 s82, v3, 4                                  // 000000005B20: D2890052 00010903
	s_and_b32 s82, s82, 0xffffff                               // 000000005B28: 8652FF52 00FFFFFF
	s_cmp_lt_u32 s82, s66                                      // 000000005B30: BF0A4252
	s_cselect_b32 s20, s36, s60                                // 000000005B34: 85143C24
	v_readlane_b32 s82, v3, 5                                  // 000000005B38: D2890052 00010B03
	s_and_b32 s82, s82, 0xffffff                               // 000000005B40: 8652FF52 00FFFFFF
	s_cmp_lt_u32 s82, s66                                      // 000000005B48: BF0A4252
	s_cselect_b32 s21, s36, s60                                // 000000005B4C: 85153C24
	s_mov_b64 exec, s[20:21]                                   // 000000005B50: BEFE0114
	global_atomic_add_f32 v6, v52, s[8:9]                      // 000000005B54: DD348000 00083406
	global_atomic_add_f32 v6, v56, s[8:9] offset:256           // 000000005B5C: DD348100 00083806
	s_mov_b64 exec, s[36:37]                                   // 000000005B64: BEFE0124
	v_mov_b32_e32 v6, v39                                      // 000000005B68: 7E0C0327
	s_mov_b64 s[60:61], 0                                      // 000000005B6C: BEBC0180
	v_readlane_b32 s82, v3, 6                                  // 000000005B70: D2890052 00010D03
	s_and_b32 s82, s82, 0xffffff                               // 000000005B78: 8652FF52 00FFFFFF
	s_cmp_lt_u32 s82, s66                                      // 000000005B80: BF0A4252
	s_cselect_b32 s20, s36, s60                                // 000000005B84: 85143C24
	v_readlane_b32 s82, v3, 7                                  // 000000005B88: D2890052 00010F03
	s_and_b32 s82, s82, 0xffffff                               // 000000005B90: 8652FF52 00FFFFFF
	s_cmp_lt_u32 s82, s66                                      // 000000005B98: BF0A4252
	s_cselect_b32 s21, s36, s60                                // 000000005B9C: 85153C24
	s_mov_b64 exec, s[20:21]                                   // 000000005BA0: BEFE0114
	global_atomic_add_f32 v6, v53, s[8:9]                      // 000000005BA4: DD348000 00083506
	global_atomic_add_f32 v6, v57, s[8:9] offset:256           // 000000005BAC: DD348100 00083906
	s_mov_b64 exec, s[36:37]                                   // 000000005BB4: BEFE0124
	ds_write_b64 v20, v[46:47]                                 // 000000005BB8: D89A0000 00002E14
	ds_write_b64 v20, v[50:51] offset:4352                     // 000000005BC0: D89A1100 00003214
	ds_write_b64 v20, v[54:55] offset:2176                     // 000000005BC8: D89A0880 00003614
	ds_write_b64 v20, v[58:59] offset:6528                     // 000000005BD0: D89A1980 00003A14
	s_waitcnt lgkmcnt(0)                                       // 000000005BD8: BF8CC07F
	s_barrier                                                  // 000000005BDC: BF8A0000
	ds_read_b32 v46, v21                                       // 000000005BE0: D86C0000 2E000015
	ds_read_b32 v47, v21 offset:64                             // 000000005BE8: D86C0040 2F000015
	ds_read_b32 v50, v21 offset:2176                           // 000000005BF0: D86C0880 32000015
	ds_read_b32 v51, v21 offset:2240                           // 000000005BF8: D86C08C0 33000015
	ds_read_b32 v54, v21 offset:4352                           // 000000005C00: D86C1100 36000015
	ds_read_b32 v55, v21 offset:4416                           // 000000005C08: D86C1140 37000015
	ds_read_b32 v58, v21 offset:6528                           // 000000005C10: D86C1980 3A000015
	ds_read_b32 v59, v21 offset:6592                           // 000000005C18: D86C19C0 3B000015
	s_waitcnt lgkmcnt(0)                                       // 000000005C20: BF8CC07F
	v_mov_b32_e32 v7, 0                                        // 000000005C24: 7E0E0280
	s_mov_b64 exec, s[36:37]                                   // 000000005C28: BEFE0124
	v_mov_b32_e32 v6, v36                                      // 000000005C2C: 7E0C0324
	s_mov_b64 s[60:61], 0                                      // 000000005C30: BEBC0180
	v_readlane_b32 s82, v3, 0                                  // 000000005C34: D2890052 00010103
	s_and_b32 s82, s82, 0xffffff                               // 000000005C3C: 8652FF52 00FFFFFF
	s_cmp_lt_u32 s82, s66                                      // 000000005C44: BF0A4252
	s_cselect_b32 s20, s36, s60                                // 000000005C48: 85143C24
	v_readlane_b32 s82, v3, 1                                  // 000000005C4C: D2890052 00010303
	s_and_b32 s82, s82, 0xffffff                               // 000000005C54: 8652FF52 00FFFFFF
	s_cmp_lt_u32 s82, s66                                      // 000000005C5C: BF0A4252
	s_cselect_b32 s21, s36, s60                                // 000000005C60: 85153C24
	s_mov_b64 exec, s[20:21]                                   // 000000005C64: BEFE0114
	global_atomic_add_f32 v6, v46, s[8:9] offset:8             // 000000005C68: DD348008 00082E06
	global_atomic_add_f32 v6, v50, s[8:9] offset:264           // 000000005C70: DD348108 00083206
	s_mov_b64 exec, s[36:37]                                   // 000000005C78: BEFE0124
	v_mov_b32_e32 v6, v37                                      // 000000005C7C: 7E0C0325
	s_mov_b64 s[60:61], 0                                      // 000000005C80: BEBC0180
	v_readlane_b32 s82, v3, 2                                  // 000000005C84: D2890052 00010503
	s_and_b32 s82, s82, 0xffffff                               // 000000005C8C: 8652FF52 00FFFFFF
	s_cmp_lt_u32 s82, s66                                      // 000000005C94: BF0A4252
	s_cselect_b32 s20, s36, s60                                // 000000005C98: 85143C24
	v_readlane_b32 s82, v3, 3                                  // 000000005C9C: D2890052 00010703
	s_and_b32 s82, s82, 0xffffff                               // 000000005CA4: 8652FF52 00FFFFFF
	s_cmp_lt_u32 s82, s66                                      // 000000005CAC: BF0A4252
	s_cselect_b32 s21, s36, s60                                // 000000005CB0: 85153C24
	s_mov_b64 exec, s[20:21]                                   // 000000005CB4: BEFE0114
	global_atomic_add_f32 v6, v47, s[8:9] offset:8             // 000000005CB8: DD348008 00082F06
	global_atomic_add_f32 v6, v51, s[8:9] offset:264           // 000000005CC0: DD348108 00083306
	s_mov_b64 exec, s[36:37]                                   // 000000005CC8: BEFE0124
	v_mov_b32_e32 v6, v38                                      // 000000005CCC: 7E0C0326
	s_mov_b64 s[60:61], 0                                      // 000000005CD0: BEBC0180
	v_readlane_b32 s82, v3, 4                                  // 000000005CD4: D2890052 00010903
	s_and_b32 s82, s82, 0xffffff                               // 000000005CDC: 8652FF52 00FFFFFF
	s_cmp_lt_u32 s82, s66                                      // 000000005CE4: BF0A4252
	s_cselect_b32 s20, s36, s60                                // 000000005CE8: 85143C24
	v_readlane_b32 s82, v3, 5                                  // 000000005CEC: D2890052 00010B03
	s_and_b32 s82, s82, 0xffffff                               // 000000005CF4: 8652FF52 00FFFFFF
	s_cmp_lt_u32 s82, s66                                      // 000000005CFC: BF0A4252
	s_cselect_b32 s21, s36, s60                                // 000000005D00: 85153C24
	s_mov_b64 exec, s[20:21]                                   // 000000005D04: BEFE0114
	global_atomic_add_f32 v6, v54, s[8:9] offset:8             // 000000005D08: DD348008 00083606
	global_atomic_add_f32 v6, v58, s[8:9] offset:264           // 000000005D10: DD348108 00083A06
	s_mov_b64 exec, s[36:37]                                   // 000000005D18: BEFE0124
	v_mov_b32_e32 v6, v39                                      // 000000005D1C: 7E0C0327
	s_mov_b64 s[60:61], 0                                      // 000000005D20: BEBC0180
	v_readlane_b32 s82, v3, 6                                  // 000000005D24: D2890052 00010D03
	s_and_b32 s82, s82, 0xffffff                               // 000000005D2C: 8652FF52 00FFFFFF
	s_cmp_lt_u32 s82, s66                                      // 000000005D34: BF0A4252
	s_cselect_b32 s20, s36, s60                                // 000000005D38: 85143C24
	v_readlane_b32 s82, v3, 7                                  // 000000005D3C: D2890052 00010F03
	s_and_b32 s82, s82, 0xffffff                               // 000000005D44: 8652FF52 00FFFFFF
	s_cmp_lt_u32 s82, s66                                      // 000000005D4C: BF0A4252
	s_cselect_b32 s21, s36, s60                                // 000000005D50: 85153C24
	s_mov_b64 exec, s[20:21]                                   // 000000005D54: BEFE0114
	global_atomic_add_f32 v6, v55, s[8:9] offset:8             // 000000005D58: DD348008 00083706
	global_atomic_add_f32 v6, v59, s[8:9] offset:264           // 000000005D60: DD348108 00083B06
	s_mov_b64 exec, s[36:37]                                   // 000000005D68: BEFE0124
	ds_write_b64 v20, v[60:61]                                 // 000000005D6C: D89A0000 00003C14
	ds_write_b64 v20, v[64:65] offset:4352                     // 000000005D74: D89A1100 00004014
	ds_write_b64 v20, v[68:69] offset:2176                     // 000000005D7C: D89A0880 00004414
	ds_write_b64 v20, v[72:73] offset:6528                     // 000000005D84: D89A1980 00004814
	s_waitcnt lgkmcnt(0)                                       // 000000005D8C: BF8CC07F
	s_barrier                                                  // 000000005D90: BF8A0000
	ds_read_b32 v60, v21                                       // 000000005D94: D86C0000 3C000015
	ds_read_b32 v61, v21 offset:64                             // 000000005D9C: D86C0040 3D000015
	ds_read_b32 v64, v21 offset:2176                           // 000000005DA4: D86C0880 40000015
	ds_read_b32 v65, v21 offset:2240                           // 000000005DAC: D86C08C0 41000015
	ds_read_b32 v68, v21 offset:4352                           // 000000005DB4: D86C1100 44000015
	ds_read_b32 v69, v21 offset:4416                           // 000000005DBC: D86C1140 45000015
	ds_read_b32 v72, v21 offset:6528                           // 000000005DC4: D86C1980 48000015
	ds_read_b32 v73, v21 offset:6592                           // 000000005DCC: D86C19C0 49000015
	s_mul_i32 s60, s65, 4                                      // 000000005DD4: 923C8441
	s_add_u32 s8, s60, s8                                      // 000000005DD8: 8008083C
	s_addc_u32 s9, 0, s9                                       // 000000005DDC: 82090980
	s_waitcnt lgkmcnt(0)                                       // 000000005DE0: BF8CC07F
	v_mov_b32_e32 v7, 0                                        // 000000005DE4: 7E0E0280
	s_mov_b64 exec, s[36:37]                                   // 000000005DE8: BEFE0124
	v_mov_b32_e32 v6, v36                                      // 000000005DEC: 7E0C0324
	s_mov_b64 s[60:61], 0                                      // 000000005DF0: BEBC0180
	v_readlane_b32 s82, v3, 0                                  // 000000005DF4: D2890052 00010103
	s_and_b32 s82, s82, 0xffffff                               // 000000005DFC: 8652FF52 00FFFFFF
	s_cmp_lt_u32 s82, s66                                      // 000000005E04: BF0A4252
	s_cselect_b32 s20, s36, s60                                // 000000005E08: 85143C24
	v_readlane_b32 s82, v3, 1                                  // 000000005E0C: D2890052 00010303
	s_and_b32 s82, s82, 0xffffff                               // 000000005E14: 8652FF52 00FFFFFF
	s_cmp_lt_u32 s82, s66                                      // 000000005E1C: BF0A4252
	s_cselect_b32 s21, s36, s60                                // 000000005E20: 85153C24
	s_mov_b64 exec, s[20:21]                                   // 000000005E24: BEFE0114
	global_atomic_add_f32 v6, v60, s[8:9]                      // 000000005E28: DD348000 00083C06
	global_atomic_add_f32 v6, v64, s[8:9] offset:256           // 000000005E30: DD348100 00084006
	s_mov_b64 exec, s[36:37]                                   // 000000005E38: BEFE0124
	v_mov_b32_e32 v6, v37                                      // 000000005E3C: 7E0C0325
	s_mov_b64 s[60:61], 0                                      // 000000005E40: BEBC0180
	v_readlane_b32 s82, v3, 2                                  // 000000005E44: D2890052 00010503
	s_and_b32 s82, s82, 0xffffff                               // 000000005E4C: 8652FF52 00FFFFFF
	s_cmp_lt_u32 s82, s66                                      // 000000005E54: BF0A4252
	s_cselect_b32 s20, s36, s60                                // 000000005E58: 85143C24
	v_readlane_b32 s82, v3, 3                                  // 000000005E5C: D2890052 00010703
	s_and_b32 s82, s82, 0xffffff                               // 000000005E64: 8652FF52 00FFFFFF
	s_cmp_lt_u32 s82, s66                                      // 000000005E6C: BF0A4252
	s_cselect_b32 s21, s36, s60                                // 000000005E70: 85153C24
	s_mov_b64 exec, s[20:21]                                   // 000000005E74: BEFE0114
	global_atomic_add_f32 v6, v61, s[8:9]                      // 000000005E78: DD348000 00083D06
	global_atomic_add_f32 v6, v65, s[8:9] offset:256           // 000000005E80: DD348100 00084106
	s_mov_b64 exec, s[36:37]                                   // 000000005E88: BEFE0124
	v_mov_b32_e32 v6, v38                                      // 000000005E8C: 7E0C0326
	s_mov_b64 s[60:61], 0                                      // 000000005E90: BEBC0180
	v_readlane_b32 s82, v3, 4                                  // 000000005E94: D2890052 00010903
	s_and_b32 s82, s82, 0xffffff                               // 000000005E9C: 8652FF52 00FFFFFF
	s_cmp_lt_u32 s82, s66                                      // 000000005EA4: BF0A4252
	s_cselect_b32 s20, s36, s60                                // 000000005EA8: 85143C24
	v_readlane_b32 s82, v3, 5                                  // 000000005EAC: D2890052 00010B03
	s_and_b32 s82, s82, 0xffffff                               // 000000005EB4: 8652FF52 00FFFFFF
	s_cmp_lt_u32 s82, s66                                      // 000000005EBC: BF0A4252
	s_cselect_b32 s21, s36, s60                                // 000000005EC0: 85153C24
	s_mov_b64 exec, s[20:21]                                   // 000000005EC4: BEFE0114
	global_atomic_add_f32 v6, v68, s[8:9]                      // 000000005EC8: DD348000 00084406
	global_atomic_add_f32 v6, v72, s[8:9] offset:256           // 000000005ED0: DD348100 00084806
	s_mov_b64 exec, s[36:37]                                   // 000000005ED8: BEFE0124
	v_mov_b32_e32 v6, v39                                      // 000000005EDC: 7E0C0327
	s_mov_b64 s[60:61], 0                                      // 000000005EE0: BEBC0180
	v_readlane_b32 s82, v3, 6                                  // 000000005EE4: D2890052 00010D03
	s_and_b32 s82, s82, 0xffffff                               // 000000005EEC: 8652FF52 00FFFFFF
	s_cmp_lt_u32 s82, s66                                      // 000000005EF4: BF0A4252
	s_cselect_b32 s20, s36, s60                                // 000000005EF8: 85143C24
	v_readlane_b32 s82, v3, 7                                  // 000000005EFC: D2890052 00010F03
	s_and_b32 s82, s82, 0xffffff                               // 000000005F04: 8652FF52 00FFFFFF
	s_cmp_lt_u32 s82, s66                                      // 000000005F0C: BF0A4252
	s_cselect_b32 s21, s36, s60                                // 000000005F10: 85153C24
	s_mov_b64 exec, s[20:21]                                   // 000000005F14: BEFE0114
	global_atomic_add_f32 v6, v69, s[8:9]                      // 000000005F18: DD348000 00084506
	global_atomic_add_f32 v6, v73, s[8:9] offset:256           // 000000005F20: DD348100 00084906
	s_mov_b64 exec, s[36:37]                                   // 000000005F28: BEFE0124
	ds_write_b64 v20, v[62:63]                                 // 000000005F2C: D89A0000 00003E14
	ds_write_b64 v20, v[66:67] offset:4352                     // 000000005F34: D89A1100 00004214
	ds_write_b64 v20, v[70:71] offset:2176                     // 000000005F3C: D89A0880 00004614
	ds_write_b64 v20, v[74:75] offset:6528                     // 000000005F44: D89A1980 00004A14
	s_waitcnt lgkmcnt(0)                                       // 000000005F4C: BF8CC07F
	s_barrier                                                  // 000000005F50: BF8A0000
	ds_read_b32 v62, v21                                       // 000000005F54: D86C0000 3E000015
	ds_read_b32 v63, v21 offset:64                             // 000000005F5C: D86C0040 3F000015
	ds_read_b32 v66, v21 offset:2176                           // 000000005F64: D86C0880 42000015
	ds_read_b32 v67, v21 offset:2240                           // 000000005F6C: D86C08C0 43000015
	ds_read_b32 v70, v21 offset:4352                           // 000000005F74: D86C1100 46000015
	ds_read_b32 v71, v21 offset:4416                           // 000000005F7C: D86C1140 47000015
	ds_read_b32 v74, v21 offset:6528                           // 000000005F84: D86C1980 4A000015
	ds_read_b32 v75, v21 offset:6592                           // 000000005F8C: D86C19C0 4B000015
	s_waitcnt lgkmcnt(0)                                       // 000000005F94: BF8CC07F
	v_mov_b32_e32 v7, 0                                        // 000000005F98: 7E0E0280
	s_mov_b64 exec, s[36:37]                                   // 000000005F9C: BEFE0124
	v_mov_b32_e32 v6, v36                                      // 000000005FA0: 7E0C0324
	s_mov_b64 s[60:61], 0                                      // 000000005FA4: BEBC0180
	v_readlane_b32 s82, v3, 0                                  // 000000005FA8: D2890052 00010103
	s_and_b32 s82, s82, 0xffffff                               // 000000005FB0: 8652FF52 00FFFFFF
	s_cmp_lt_u32 s82, s66                                      // 000000005FB8: BF0A4252
	s_cselect_b32 s20, s36, s60                                // 000000005FBC: 85143C24
	v_readlane_b32 s82, v3, 1                                  // 000000005FC0: D2890052 00010303
	s_and_b32 s82, s82, 0xffffff                               // 000000005FC8: 8652FF52 00FFFFFF
	s_cmp_lt_u32 s82, s66                                      // 000000005FD0: BF0A4252
	s_cselect_b32 s21, s36, s60                                // 000000005FD4: 85153C24
	s_mov_b64 exec, s[20:21]                                   // 000000005FD8: BEFE0114
	global_atomic_add_f32 v6, v62, s[8:9] offset:8             // 000000005FDC: DD348008 00083E06
	global_atomic_add_f32 v6, v66, s[8:9] offset:264           // 000000005FE4: DD348108 00084206
	s_mov_b64 exec, s[36:37]                                   // 000000005FEC: BEFE0124
	v_mov_b32_e32 v6, v37                                      // 000000005FF0: 7E0C0325
	s_mov_b64 s[60:61], 0                                      // 000000005FF4: BEBC0180
	v_readlane_b32 s82, v3, 2                                  // 000000005FF8: D2890052 00010503
	s_and_b32 s82, s82, 0xffffff                               // 000000006000: 8652FF52 00FFFFFF
	s_cmp_lt_u32 s82, s66                                      // 000000006008: BF0A4252
	s_cselect_b32 s20, s36, s60                                // 00000000600C: 85143C24
	v_readlane_b32 s82, v3, 3                                  // 000000006010: D2890052 00010703
	s_and_b32 s82, s82, 0xffffff                               // 000000006018: 8652FF52 00FFFFFF
	s_cmp_lt_u32 s82, s66                                      // 000000006020: BF0A4252
	s_cselect_b32 s21, s36, s60                                // 000000006024: 85153C24
	s_mov_b64 exec, s[20:21]                                   // 000000006028: BEFE0114
	global_atomic_add_f32 v6, v63, s[8:9] offset:8             // 00000000602C: DD348008 00083F06
	global_atomic_add_f32 v6, v67, s[8:9] offset:264           // 000000006034: DD348108 00084306
	s_mov_b64 exec, s[36:37]                                   // 00000000603C: BEFE0124
	v_mov_b32_e32 v6, v38                                      // 000000006040: 7E0C0326
	s_mov_b64 s[60:61], 0                                      // 000000006044: BEBC0180
	v_readlane_b32 s82, v3, 4                                  // 000000006048: D2890052 00010903
	s_and_b32 s82, s82, 0xffffff                               // 000000006050: 8652FF52 00FFFFFF
	s_cmp_lt_u32 s82, s66                                      // 000000006058: BF0A4252
	s_cselect_b32 s20, s36, s60                                // 00000000605C: 85143C24
	v_readlane_b32 s82, v3, 5                                  // 000000006060: D2890052 00010B03
	s_and_b32 s82, s82, 0xffffff                               // 000000006068: 8652FF52 00FFFFFF
	s_cmp_lt_u32 s82, s66                                      // 000000006070: BF0A4252
	s_cselect_b32 s21, s36, s60                                // 000000006074: 85153C24
	s_mov_b64 exec, s[20:21]                                   // 000000006078: BEFE0114
	global_atomic_add_f32 v6, v70, s[8:9] offset:8             // 00000000607C: DD348008 00084606
	global_atomic_add_f32 v6, v74, s[8:9] offset:264           // 000000006084: DD348108 00084A06
	s_mov_b64 exec, s[36:37]                                   // 00000000608C: BEFE0124
	v_mov_b32_e32 v6, v39                                      // 000000006090: 7E0C0327
	s_mov_b64 s[60:61], 0                                      // 000000006094: BEBC0180
	v_readlane_b32 s82, v3, 6                                  // 000000006098: D2890052 00010D03
	s_and_b32 s82, s82, 0xffffff                               // 0000000060A0: 8652FF52 00FFFFFF
	s_cmp_lt_u32 s82, s66                                      // 0000000060A8: BF0A4252
	s_cselect_b32 s20, s36, s60                                // 0000000060AC: 85143C24
	v_readlane_b32 s82, v3, 7                                  // 0000000060B0: D2890052 00010F03
	s_and_b32 s82, s82, 0xffffff                               // 0000000060B8: 8652FF52 00FFFFFF
	s_cmp_lt_u32 s82, s66                                      // 0000000060C0: BF0A4252
	s_cselect_b32 s21, s36, s60                                // 0000000060C4: 85153C24
	s_mov_b64 exec, s[20:21]                                   // 0000000060C8: BEFE0114
	global_atomic_add_f32 v6, v71, s[8:9] offset:8             // 0000000060CC: DD348008 00084706
	global_atomic_add_f32 v6, v75, s[8:9] offset:264           // 0000000060D4: DD348108 00084B06
	s_mov_b64 exec, s[36:37]                                   // 0000000060DC: BEFE0124
	s_branch label_0DBC                                        // 0000000060E0: BF820000

00000000000060e4 <label_0DBC>:
	s_waitcnt vmcnt(0) expcnt(0) lgkmcnt(0)                    // 0000000060E4: BF8C0000
	s_endpgm                                                   // 0000000060E8: BF810000
